;; amdgpu-corpus repo=ROCm/rocFFT kind=compiled arch=gfx906 opt=O3
	.text
	.amdgcn_target "amdgcn-amd-amdhsa--gfx906"
	.amdhsa_code_object_version 6
	.protected	fft_rtc_back_len952_factors_17_4_2_7_wgs_204_tpt_68_halfLds_sp_op_CI_CI_unitstride_sbrr_C2R_dirReg ; -- Begin function fft_rtc_back_len952_factors_17_4_2_7_wgs_204_tpt_68_halfLds_sp_op_CI_CI_unitstride_sbrr_C2R_dirReg
	.globl	fft_rtc_back_len952_factors_17_4_2_7_wgs_204_tpt_68_halfLds_sp_op_CI_CI_unitstride_sbrr_C2R_dirReg
	.p2align	8
	.type	fft_rtc_back_len952_factors_17_4_2_7_wgs_204_tpt_68_halfLds_sp_op_CI_CI_unitstride_sbrr_C2R_dirReg,@function
fft_rtc_back_len952_factors_17_4_2_7_wgs_204_tpt_68_halfLds_sp_op_CI_CI_unitstride_sbrr_C2R_dirReg: ; @fft_rtc_back_len952_factors_17_4_2_7_wgs_204_tpt_68_halfLds_sp_op_CI_CI_unitstride_sbrr_C2R_dirReg
; %bb.0:
	s_load_dwordx4 s[8:11], s[4:5], 0x58
	s_load_dwordx4 s[12:15], s[4:5], 0x0
	;; [unrolled: 1-line block ×3, first 2 shown]
	v_mul_u32_u24_e32 v1, 0x3c4, v0
	s_mov_b64 s[30:31], s[2:3]
	v_lshrrev_b32_e32 v1, 16, v1
	s_mov_b64 s[28:29], s[0:1]
	v_mad_u64_u32 v[3:4], s[0:1], s6, 3, v[1:2]
	v_mov_b32_e32 v5, 0
	v_mov_b32_e32 v1, 0
	;; [unrolled: 1-line block ×3, first 2 shown]
	s_waitcnt lgkmcnt(0)
	v_cmp_lt_u64_e64 s[0:1], s[14:15], 2
	v_mov_b32_e32 v2, 0
	s_add_u32 s28, s28, s7
	v_mov_b32_e32 v41, v2
	v_mov_b32_e32 v43, v4
	s_addc_u32 s29, s29, 0
	s_and_b64 vcc, exec, s[0:1]
	v_mov_b32_e32 v40, v1
	v_mov_b32_e32 v42, v3
	s_cbranch_vccnz .LBB0_8
; %bb.1:
	s_load_dwordx2 s[0:1], s[4:5], 0x10
	s_add_u32 s2, s18, 8
	s_addc_u32 s3, s19, 0
	s_add_u32 s6, s16, 8
	v_mov_b32_e32 v1, 0
	s_addc_u32 s7, s17, 0
	v_mov_b32_e32 v2, 0
	s_waitcnt lgkmcnt(0)
	s_add_u32 s20, s0, 8
	v_mov_b32_e32 v41, v2
	v_mov_b32_e32 v8, v4
	s_addc_u32 s21, s1, 0
	s_mov_b64 s[22:23], 1
	v_mov_b32_e32 v40, v1
	v_mov_b32_e32 v7, v3
.LBB0_2:                                ; =>This Inner Loop Header: Depth=1
	s_load_dwordx2 s[24:25], s[20:21], 0x0
                                        ; implicit-def: $vgpr42_vgpr43
	s_waitcnt lgkmcnt(0)
	v_or_b32_e32 v6, s25, v8
	v_cmp_ne_u64_e32 vcc, 0, v[5:6]
	s_and_saveexec_b64 s[0:1], vcc
	s_xor_b64 s[26:27], exec, s[0:1]
	s_cbranch_execz .LBB0_4
; %bb.3:                                ;   in Loop: Header=BB0_2 Depth=1
	v_cvt_f32_u32_e32 v4, s24
	v_cvt_f32_u32_e32 v6, s25
	s_sub_u32 s0, 0, s24
	s_subb_u32 s1, 0, s25
	v_mac_f32_e32 v4, 0x4f800000, v6
	v_rcp_f32_e32 v4, v4
	v_mul_f32_e32 v4, 0x5f7ffffc, v4
	v_mul_f32_e32 v6, 0x2f800000, v4
	v_trunc_f32_e32 v6, v6
	v_mac_f32_e32 v4, 0xcf800000, v6
	v_cvt_u32_f32_e32 v6, v6
	v_cvt_u32_f32_e32 v4, v4
	v_mul_lo_u32 v9, s0, v6
	v_mul_hi_u32 v10, s0, v4
	v_mul_lo_u32 v12, s1, v4
	v_mul_lo_u32 v11, s0, v4
	v_add_u32_e32 v9, v10, v9
	v_add_u32_e32 v9, v9, v12
	v_mul_hi_u32 v10, v4, v11
	v_mul_lo_u32 v12, v4, v9
	v_mul_hi_u32 v14, v4, v9
	v_mul_hi_u32 v13, v6, v11
	v_mul_lo_u32 v11, v6, v11
	v_mul_hi_u32 v15, v6, v9
	v_add_co_u32_e32 v10, vcc, v10, v12
	v_addc_co_u32_e32 v12, vcc, 0, v14, vcc
	v_mul_lo_u32 v9, v6, v9
	v_add_co_u32_e32 v10, vcc, v10, v11
	v_addc_co_u32_e32 v10, vcc, v12, v13, vcc
	v_addc_co_u32_e32 v11, vcc, 0, v15, vcc
	v_add_co_u32_e32 v9, vcc, v10, v9
	v_addc_co_u32_e32 v10, vcc, 0, v11, vcc
	v_add_co_u32_e32 v4, vcc, v4, v9
	v_addc_co_u32_e32 v6, vcc, v6, v10, vcc
	v_mul_lo_u32 v9, s0, v6
	v_mul_hi_u32 v10, s0, v4
	v_mul_lo_u32 v11, s1, v4
	v_mul_lo_u32 v12, s0, v4
	v_add_u32_e32 v9, v10, v9
	v_add_u32_e32 v9, v9, v11
	v_mul_lo_u32 v13, v4, v9
	v_mul_hi_u32 v14, v4, v12
	v_mul_hi_u32 v15, v4, v9
	;; [unrolled: 1-line block ×3, first 2 shown]
	v_mul_lo_u32 v12, v6, v12
	v_mul_hi_u32 v10, v6, v9
	v_add_co_u32_e32 v13, vcc, v14, v13
	v_addc_co_u32_e32 v14, vcc, 0, v15, vcc
	v_mul_lo_u32 v9, v6, v9
	v_add_co_u32_e32 v12, vcc, v13, v12
	v_addc_co_u32_e32 v11, vcc, v14, v11, vcc
	v_addc_co_u32_e32 v10, vcc, 0, v10, vcc
	v_add_co_u32_e32 v9, vcc, v11, v9
	v_addc_co_u32_e32 v10, vcc, 0, v10, vcc
	v_add_co_u32_e32 v4, vcc, v4, v9
	v_addc_co_u32_e32 v6, vcc, v6, v10, vcc
	v_mad_u64_u32 v[9:10], s[0:1], v7, v6, 0
	v_mul_hi_u32 v11, v7, v4
	v_add_co_u32_e32 v13, vcc, v11, v9
	v_addc_co_u32_e32 v14, vcc, 0, v10, vcc
	v_mad_u64_u32 v[9:10], s[0:1], v8, v4, 0
	v_mad_u64_u32 v[11:12], s[0:1], v8, v6, 0
	v_add_co_u32_e32 v4, vcc, v13, v9
	v_addc_co_u32_e32 v4, vcc, v14, v10, vcc
	v_addc_co_u32_e32 v6, vcc, 0, v12, vcc
	v_add_co_u32_e32 v4, vcc, v4, v11
	v_addc_co_u32_e32 v6, vcc, 0, v6, vcc
	v_mul_lo_u32 v11, s25, v4
	v_mul_lo_u32 v12, s24, v6
	v_mad_u64_u32 v[9:10], s[0:1], s24, v4, 0
	v_add3_u32 v10, v10, v12, v11
	v_sub_u32_e32 v11, v8, v10
	v_mov_b32_e32 v12, s25
	v_sub_co_u32_e32 v9, vcc, v7, v9
	v_subb_co_u32_e64 v11, s[0:1], v11, v12, vcc
	v_subrev_co_u32_e64 v12, s[0:1], s24, v9
	v_subbrev_co_u32_e64 v11, s[0:1], 0, v11, s[0:1]
	v_cmp_le_u32_e64 s[0:1], s25, v11
	v_cndmask_b32_e64 v13, 0, -1, s[0:1]
	v_cmp_le_u32_e64 s[0:1], s24, v12
	v_cndmask_b32_e64 v12, 0, -1, s[0:1]
	v_cmp_eq_u32_e64 s[0:1], s25, v11
	v_cndmask_b32_e64 v11, v13, v12, s[0:1]
	v_add_co_u32_e64 v12, s[0:1], 2, v4
	v_addc_co_u32_e64 v13, s[0:1], 0, v6, s[0:1]
	v_add_co_u32_e64 v14, s[0:1], 1, v4
	v_addc_co_u32_e64 v15, s[0:1], 0, v6, s[0:1]
	v_subb_co_u32_e32 v10, vcc, v8, v10, vcc
	v_cmp_ne_u32_e64 s[0:1], 0, v11
	v_cmp_le_u32_e32 vcc, s25, v10
	v_cndmask_b32_e64 v11, v15, v13, s[0:1]
	v_cndmask_b32_e64 v13, 0, -1, vcc
	v_cmp_le_u32_e32 vcc, s24, v9
	v_cndmask_b32_e64 v9, 0, -1, vcc
	v_cmp_eq_u32_e32 vcc, s25, v10
	v_cndmask_b32_e32 v9, v13, v9, vcc
	v_cmp_ne_u32_e32 vcc, 0, v9
	v_cndmask_b32_e32 v43, v6, v11, vcc
	v_cndmask_b32_e64 v6, v14, v12, s[0:1]
	v_cndmask_b32_e32 v42, v4, v6, vcc
.LBB0_4:                                ;   in Loop: Header=BB0_2 Depth=1
	s_andn2_saveexec_b64 s[0:1], s[26:27]
	s_cbranch_execz .LBB0_6
; %bb.5:                                ;   in Loop: Header=BB0_2 Depth=1
	v_cvt_f32_u32_e32 v4, s24
	s_sub_i32 s26, 0, s24
	v_mov_b32_e32 v43, v5
	v_rcp_iflag_f32_e32 v4, v4
	v_mul_f32_e32 v4, 0x4f7ffffe, v4
	v_cvt_u32_f32_e32 v4, v4
	v_mul_lo_u32 v6, s26, v4
	v_mul_hi_u32 v6, v4, v6
	v_add_u32_e32 v4, v4, v6
	v_mul_hi_u32 v4, v7, v4
	v_mul_lo_u32 v6, v4, s24
	v_add_u32_e32 v9, 1, v4
	v_sub_u32_e32 v6, v7, v6
	v_subrev_u32_e32 v10, s24, v6
	v_cmp_le_u32_e32 vcc, s24, v6
	v_cndmask_b32_e32 v6, v6, v10, vcc
	v_cndmask_b32_e32 v4, v4, v9, vcc
	v_add_u32_e32 v9, 1, v4
	v_cmp_le_u32_e32 vcc, s24, v6
	v_cndmask_b32_e32 v42, v4, v9, vcc
.LBB0_6:                                ;   in Loop: Header=BB0_2 Depth=1
	s_or_b64 exec, exec, s[0:1]
	v_mul_lo_u32 v4, v43, s24
	v_mul_lo_u32 v6, v42, s25
	v_mad_u64_u32 v[9:10], s[0:1], v42, s24, 0
	s_load_dwordx2 s[0:1], s[6:7], 0x0
	s_load_dwordx2 s[24:25], s[2:3], 0x0
	v_add3_u32 v4, v10, v6, v4
	v_sub_co_u32_e32 v6, vcc, v7, v9
	v_subb_co_u32_e32 v4, vcc, v8, v4, vcc
	s_waitcnt lgkmcnt(0)
	v_mul_lo_u32 v7, s0, v4
	v_mul_lo_u32 v8, s1, v6
	v_mad_u64_u32 v[1:2], s[0:1], s0, v6, v[1:2]
	s_add_u32 s22, s22, 1
	s_addc_u32 s23, s23, 0
	s_add_u32 s2, s2, 8
	v_mul_lo_u32 v4, s24, v4
	v_mul_lo_u32 v9, s25, v6
	v_mad_u64_u32 v[40:41], s[0:1], s24, v6, v[40:41]
	v_add3_u32 v2, v8, v2, v7
	s_addc_u32 s3, s3, 0
	v_mov_b32_e32 v6, s14
	s_add_u32 s6, s6, 8
	v_mov_b32_e32 v7, s15
	s_addc_u32 s7, s7, 0
	v_cmp_ge_u64_e32 vcc, s[22:23], v[6:7]
	s_add_u32 s20, s20, 8
	v_add3_u32 v41, v9, v41, v4
	s_addc_u32 s21, s21, 0
	s_cbranch_vccnz .LBB0_8
; %bb.7:                                ;   in Loop: Header=BB0_2 Depth=1
	v_mov_b32_e32 v7, v42
	v_mov_b32_e32 v8, v43
	s_branch .LBB0_2
.LBB0_8:
	s_mov_b32 s0, 0xaaaaaaab
	s_load_dwordx2 s[4:5], s[4:5], 0x28
	v_mul_hi_u32 v4, v3, s0
	s_lshl_b64 s[6:7], s[14:15], 3
	s_add_u32 s2, s18, s6
	s_addc_u32 s3, s19, s7
	v_lshrrev_b32_e32 v4, 1, v4
	v_lshl_add_u32 v4, v4, 1, v4
	s_waitcnt lgkmcnt(0)
	v_cmp_gt_u64_e64 s[0:1], s[4:5], v[42:43]
	v_cmp_le_u64_e32 vcc, s[4:5], v[42:43]
	v_sub_u32_e32 v5, v3, v4
                                        ; implicit-def: $vgpr44
                                        ; implicit-def: $vgpr3_vgpr4
	s_and_saveexec_b64 s[4:5], vcc
	s_xor_b64 s[4:5], exec, s[4:5]
; %bb.9:
	s_mov_b32 s14, 0x3c3c3c4
	v_mul_hi_u32 v1, v0, s14
	v_mov_b32_e32 v45, 0
	v_mul_u32_u24_e32 v1, 0x44, v1
	v_sub_u32_e32 v44, v0, v1
	v_mov_b32_e32 v3, v44
	v_mov_b32_e32 v4, v45
                                        ; implicit-def: $vgpr0
                                        ; implicit-def: $vgpr1_vgpr2
; %bb.10:
	s_or_saveexec_b64 s[4:5], s[4:5]
	s_load_dwordx2 s[2:3], s[2:3], 0x0
	v_mul_u32_u24_e32 v5, 0x3b9, v5
	v_lshlrev_b32_e32 v55, 3, v5
	s_xor_b64 exec, exec, s[4:5]
	s_cbranch_execz .LBB0_14
; %bb.11:
	s_add_u32 s6, s16, s6
	s_addc_u32 s7, s17, s7
	s_load_dwordx2 s[6:7], s[6:7], 0x0
	s_mov_b32 s14, 0x3c3c3c4
	v_mul_hi_u32 v6, v0, s14
	v_lshlrev_b64 v[1:2], 3, v[1:2]
	v_mov_b32_e32 v45, 0
	s_waitcnt lgkmcnt(0)
	v_mul_lo_u32 v7, s7, v42
	v_mul_lo_u32 v8, s6, v43
	v_mad_u64_u32 v[3:4], s[6:7], s6, v42, 0
	v_mul_u32_u24_e32 v6, 0x44, v6
	v_sub_u32_e32 v44, v0, v6
	v_add3_u32 v4, v4, v8, v7
	v_lshlrev_b64 v[3:4], 3, v[3:4]
	v_mov_b32_e32 v0, s9
	v_add_co_u32_e32 v3, vcc, s8, v3
	v_addc_co_u32_e32 v0, vcc, v0, v4, vcc
	v_add_co_u32_e32 v1, vcc, v3, v1
	v_addc_co_u32_e32 v0, vcc, v0, v2, vcc
	v_lshlrev_b32_e32 v4, 3, v44
	v_add_co_u32_e32 v2, vcc, v1, v4
	v_addc_co_u32_e32 v3, vcc, 0, v0, vcc
	s_movk_i32 s6, 0x1000
	v_add_co_u32_e32 v14, vcc, s6, v2
	global_load_dwordx2 v[6:7], v[2:3], off
	global_load_dwordx2 v[8:9], v[2:3], off offset:544
	global_load_dwordx2 v[10:11], v[2:3], off offset:1088
	;; [unrolled: 1-line block ×3, first 2 shown]
	v_addc_co_u32_e32 v15, vcc, 0, v3, vcc
	global_load_dwordx2 v[16:17], v[2:3], off offset:2176
	global_load_dwordx2 v[18:19], v[2:3], off offset:2720
	;; [unrolled: 1-line block ×10, first 2 shown]
	v_add3_u32 v2, 0, v55, v4
	v_add_u32_e32 v3, 0x800, v2
	v_add_u32_e32 v4, 0x1000, v2
	s_movk_i32 s6, 0x43
	v_add_u32_e32 v14, 0x1800, v2
	v_cmp_eq_u32_e32 vcc, s6, v44
	s_waitcnt vmcnt(12)
	ds_write2_b64 v2, v[6:7], v[8:9] offset1:68
	s_waitcnt vmcnt(10)
	ds_write2_b64 v2, v[10:11], v[12:13] offset0:136 offset1:204
	s_waitcnt vmcnt(8)
	ds_write2_b64 v3, v[16:17], v[18:19] offset0:16 offset1:84
	;; [unrolled: 2-line block ×6, first 2 shown]
	v_mov_b32_e32 v3, v44
	v_mov_b32_e32 v4, v45
	s_and_saveexec_b64 s[6:7], vcc
	s_cbranch_execz .LBB0_13
; %bb.12:
	v_add_co_u32_e32 v3, vcc, 0x1000, v1
	v_addc_co_u32_e32 v4, vcc, 0, v0, vcc
	global_load_dwordx2 v[0:1], v[3:4], off offset:3520
	v_mov_b32_e32 v3, 0x43
	v_mov_b32_e32 v4, 0
	;; [unrolled: 1-line block ×3, first 2 shown]
	s_waitcnt vmcnt(0)
	ds_write_b64 v2, v[0:1] offset:7080
.LBB0_13:
	s_or_b64 exec, exec, s[6:7]
.LBB0_14:
	s_or_b64 exec, exec, s[4:5]
	v_lshl_add_u32 v157, v5, 3, 0
	v_lshlrev_b32_e32 v0, 3, v44
	v_add_u32_e32 v56, v157, v0
	s_waitcnt lgkmcnt(0)
	s_barrier
	v_sub_u32_e32 v2, v157, v0
	ds_read_b32 v6, v56
	ds_read_b32 v7, v2 offset:7616
	s_add_u32 s6, s12, 0x1d38
	v_lshlrev_b64 v[46:47], 3, v[3:4]
	s_addc_u32 s7, s13, 0
	v_cmp_ne_u32_e32 vcc, 0, v44
	s_waitcnt lgkmcnt(0)
	v_add_f32_e32 v0, v7, v6
	v_sub_f32_e32 v1, v6, v7
	s_and_saveexec_b64 s[4:5], vcc
	s_xor_b64 s[4:5], exec, s[4:5]
	s_cbranch_execz .LBB0_16
; %bb.15:
	v_mov_b32_e32 v1, s7
	v_add_co_u32_e32 v0, vcc, s6, v46
	v_addc_co_u32_e32 v1, vcc, v1, v47, vcc
	global_load_dwordx2 v[3:4], v[0:1], off
	ds_read_b32 v0, v2 offset:7620
	ds_read_b32 v1, v56 offset:4
	v_add_f32_e32 v8, v7, v6
	v_sub_f32_e32 v9, v6, v7
	s_waitcnt lgkmcnt(0)
	v_add_f32_e32 v10, v0, v1
	v_sub_f32_e32 v0, v1, v0
	s_waitcnt vmcnt(0)
	v_fma_f32 v6, -v9, v4, v8
	v_fma_f32 v7, v10, v4, -v0
	v_fma_f32 v11, v9, v4, v8
	v_fma_f32 v1, v10, v4, v0
	v_fmac_f32_e32 v6, v3, v10
	v_fmac_f32_e32 v7, v9, v3
	v_fma_f32 v0, -v3, v10, v11
	v_fmac_f32_e32 v1, v9, v3
	ds_write_b64 v2, v[6:7] offset:7616
.LBB0_16:
	s_andn2_saveexec_b64 s[4:5], s[4:5]
	s_cbranch_execz .LBB0_18
; %bb.17:
	ds_read_b64 v[3:4], v157 offset:3808
	s_waitcnt lgkmcnt(0)
	v_add_f32_e32 v3, v3, v3
	v_mul_f32_e32 v4, -2.0, v4
	ds_write_b64 v157, v[3:4] offset:3808
.LBB0_18:
	s_or_b64 exec, exec, s[4:5]
	v_mov_b32_e32 v45, 0
	v_lshlrev_b64 v[3:4], 3, v[44:45]
	v_mov_b32_e32 v6, s7
	v_add_co_u32_e32 v3, vcc, s6, v3
	v_addc_co_u32_e32 v4, vcc, v6, v4, vcc
	global_load_dwordx2 v[6:7], v[3:4], off offset:544
	global_load_dwordx2 v[8:9], v[3:4], off offset:1088
	;; [unrolled: 1-line block ×4, first 2 shown]
	ds_write_b64 v56, v[0:1]
	ds_read_b64 v[0:1], v56 offset:544
	ds_read_b64 v[14:15], v2 offset:7072
	global_load_dwordx2 v[16:17], v[3:4], off offset:2720
	v_lshl_add_u32 v165, v44, 3, 0
	v_lshl_add_u32 v45, v5, 3, v165
	v_add_u32_e32 v58, 0x1400, v45
	s_waitcnt lgkmcnt(0)
	v_add_f32_e32 v18, v0, v14
	v_add_f32_e32 v19, v15, v1
	v_sub_f32_e32 v20, v0, v14
	v_sub_f32_e32 v14, v1, v15
	s_mov_b32 s6, 0x3f3d2fb0
	s_mov_b32 s7, 0x3dbcf732
	v_add_u32_e32 v64, 0x800, v45
	s_mov_b32 s8, 0xbf1a4643
	v_add_u32_e32 v62, 0x1000, v45
	s_mov_b32 s9, 0xbf7ba420
	s_mov_b32 s14, 0xbf59a7d5
	;; [unrolled: 1-line block ×5, first 2 shown]
	v_cmp_gt_u32_e32 vcc, 56, v44
	s_waitcnt vmcnt(4)
	v_fma_f32 v21, v20, v7, v18
	v_fma_f32 v15, v19, v7, v14
	v_fma_f32 v0, -v20, v7, v18
	v_fma_f32 v1, v19, v7, -v14
	v_fma_f32 v14, -v6, v19, v21
	v_fmac_f32_e32 v15, v20, v6
	v_fmac_f32_e32 v0, v6, v19
	;; [unrolled: 1-line block ×3, first 2 shown]
	ds_write_b64 v56, v[14:15] offset:544
	ds_write_b64 v2, v[0:1] offset:7072
	ds_read_b64 v[0:1], v56 offset:1088
	ds_read_b64 v[6:7], v2 offset:6528
	global_load_dwordx2 v[3:4], v[3:4], off offset:3264
	s_waitcnt lgkmcnt(0)
	v_add_f32_e32 v14, v0, v6
	v_add_f32_e32 v15, v7, v1
	v_sub_f32_e32 v18, v0, v6
	v_sub_f32_e32 v6, v1, v7
	s_waitcnt vmcnt(4)
	v_fma_f32 v19, v18, v9, v14
	v_fma_f32 v7, v15, v9, v6
	v_fma_f32 v0, -v18, v9, v14
	v_fma_f32 v1, v15, v9, -v6
	v_fma_f32 v6, -v8, v15, v19
	v_fmac_f32_e32 v7, v18, v8
	v_fmac_f32_e32 v0, v8, v15
	v_fmac_f32_e32 v1, v18, v8
	ds_write_b64 v56, v[6:7] offset:1088
	ds_write_b64 v2, v[0:1] offset:6528
	ds_read_b64 v[0:1], v56 offset:1632
	ds_read_b64 v[6:7], v2 offset:5984
	s_waitcnt lgkmcnt(0)
	v_add_f32_e32 v8, v0, v6
	v_add_f32_e32 v9, v7, v1
	v_sub_f32_e32 v14, v0, v6
	v_sub_f32_e32 v6, v1, v7
	s_waitcnt vmcnt(3)
	v_fma_f32 v15, v14, v11, v8
	v_fma_f32 v7, v9, v11, v6
	v_fma_f32 v0, -v14, v11, v8
	v_fma_f32 v1, v9, v11, -v6
	v_fma_f32 v6, -v10, v9, v15
	v_fmac_f32_e32 v7, v14, v10
	v_fmac_f32_e32 v0, v10, v9
	v_fmac_f32_e32 v1, v14, v10
	ds_write_b64 v56, v[6:7] offset:1632
	ds_write_b64 v2, v[0:1] offset:5984
	ds_read_b64 v[0:1], v56 offset:2176
	ds_read_b64 v[6:7], v2 offset:5440
	s_waitcnt lgkmcnt(0)
	v_add_f32_e32 v8, v0, v6
	v_add_f32_e32 v9, v7, v1
	v_sub_f32_e32 v10, v0, v6
	v_sub_f32_e32 v0, v1, v7
	s_waitcnt vmcnt(2)
	v_fma_f32 v11, v10, v13, v8
	v_fma_f32 v1, v9, v13, v0
	v_fma_f32 v6, -v10, v13, v8
	v_fma_f32 v7, v9, v13, -v0
	v_fma_f32 v0, -v12, v9, v11
	v_fmac_f32_e32 v1, v10, v12
	v_fmac_f32_e32 v6, v12, v9
	v_fmac_f32_e32 v7, v10, v12
	ds_write_b64 v56, v[0:1] offset:2176
	ds_write_b64 v2, v[6:7] offset:5440
	ds_read_b64 v[0:1], v56 offset:2720
	ds_read_b64 v[6:7], v2 offset:4896
	s_waitcnt lgkmcnt(0)
	v_add_f32_e32 v8, v0, v6
	v_add_f32_e32 v9, v7, v1
	v_sub_f32_e32 v10, v0, v6
	v_sub_f32_e32 v0, v1, v7
	s_waitcnt vmcnt(1)
	v_fma_f32 v11, v10, v17, v8
	v_fma_f32 v1, v9, v17, v0
	v_fma_f32 v6, -v10, v17, v8
	v_fma_f32 v7, v9, v17, -v0
	v_fma_f32 v0, -v16, v9, v11
	v_fmac_f32_e32 v1, v10, v16
	v_fmac_f32_e32 v6, v16, v9
	v_fmac_f32_e32 v7, v10, v16
	ds_write_b64 v56, v[0:1] offset:2720
	ds_write_b64 v2, v[6:7] offset:4896
	ds_read_b64 v[0:1], v56 offset:3264
	ds_read_b64 v[6:7], v2 offset:4352
	v_add_u32_e32 v8, 0x1800, v45
	s_waitcnt lgkmcnt(0)
	v_add_f32_e32 v5, v0, v6
	v_add_f32_e32 v9, v7, v1
	v_sub_f32_e32 v10, v0, v6
	v_sub_f32_e32 v0, v1, v7
	s_waitcnt vmcnt(0)
	v_fma_f32 v7, v10, v4, v5
	v_fma_f32 v1, v9, v4, v0
	v_fma_f32 v5, -v10, v4, v5
	v_fma_f32 v6, v9, v4, -v0
	v_fma_f32 v0, -v3, v9, v7
	v_fmac_f32_e32 v1, v10, v3
	v_fmac_f32_e32 v5, v3, v9
	;; [unrolled: 1-line block ×3, first 2 shown]
	ds_write_b64 v56, v[0:1] offset:3264
	ds_write_b64 v2, v[5:6] offset:4352
	s_waitcnt lgkmcnt(0)
	s_barrier
	s_barrier
	ds_read2_b64 v[12:15], v45 offset0:56 offset1:112
	ds_read2_b64 v[8:11], v8 offset0:72 offset1:128
	ds_read_b64 v[48:49], v56
	ds_read2_b64 v[20:23], v45 offset0:168 offset1:224
	ds_read2_b64 v[16:19], v58 offset0:88 offset1:144
	;; [unrolled: 1-line block ×4, first 2 shown]
	s_waitcnt lgkmcnt(5)
	v_sub_f32_e32 v66, v13, v11
	v_add_f32_e32 v71, v11, v13
	v_add_f32_e32 v59, v10, v12
	v_sub_f32_e32 v67, v15, v9
	v_mul_f32_e32 v76, 0xbf2c7751, v66
	v_mul_f32_e32 v79, 0x3f3d2fb0, v71
	v_add_f32_e32 v60, v8, v14
	v_sub_f32_e32 v61, v12, v10
	v_add_f32_e32 v72, v9, v15
	v_mul_f32_e32 v75, 0xbf7ee86f, v67
	v_fma_f32 v0, v59, s6, -v76
	v_mov_b32_e32 v2, v79
	v_fma_f32 v1, v60, s7, -v75
	s_waitcnt lgkmcnt(4)
	v_add_f32_e32 v0, v48, v0
	v_fmac_f32_e32 v2, 0xbf2c7751, v61
	v_mul_f32_e32 v80, 0x3dbcf732, v72
	v_sub_f32_e32 v63, v14, v8
	v_add_f32_e32 v0, v1, v0
	v_add_f32_e32 v1, v49, v2
	v_mov_b32_e32 v2, v80
	s_waitcnt lgkmcnt(2)
	v_sub_f32_e32 v74, v21, v19
	v_fmac_f32_e32 v2, 0xbf7ee86f, v63
	v_add_f32_e32 v65, v18, v20
	v_mul_f32_e32 v84, 0xbf4c4adb, v74
	v_add_f32_e32 v82, v19, v21
	v_add_f32_e32 v1, v2, v1
	v_fma_f32 v2, v65, s8, -v84
	v_mul_f32_e32 v88, 0xbf1a4643, v82
	v_add_f32_e32 v0, v2, v0
	v_sub_f32_e32 v68, v20, v18
	v_mov_b32_e32 v2, v88
	v_sub_f32_e32 v81, v23, v17
	v_fmac_f32_e32 v2, 0xbf4c4adb, v68
	v_add_f32_e32 v69, v16, v22
	v_mul_f32_e32 v89, 0xbe3c28d5, v81
	v_add_f32_e32 v86, v17, v23
	v_add_f32_e32 v1, v2, v1
	v_fma_f32 v2, v69, s9, -v89
	v_mul_f32_e32 v92, 0xbf7ba420, v86
	v_add_f32_e32 v0, v2, v0
	v_sub_f32_e32 v70, v22, v16
	v_mov_b32_e32 v2, v92
	s_waitcnt lgkmcnt(0)
	v_sub_f32_e32 v87, v29, v27
	v_fmac_f32_e32 v2, 0xbe3c28d5, v70
	v_add_f32_e32 v73, v26, v28
	v_mul_f32_e32 v96, 0x3f06c442, v87
	v_add_f32_e32 v94, v27, v29
	v_add_f32_e32 v1, v2, v1
	v_fma_f32 v2, v73, s14, -v96
	v_mul_f32_e32 v99, 0xbf59a7d5, v94
	v_add_f32_e32 v0, v2, v0
	v_sub_f32_e32 v77, v28, v26
	v_mov_b32_e32 v2, v99
	v_sub_f32_e32 v91, v31, v25
	v_fmac_f32_e32 v2, 0x3f06c442, v77
	v_add_f32_e32 v78, v24, v30
	v_mul_f32_e32 v100, 0x3f763a35, v91
	v_add_f32_e32 v1, v2, v1
	v_fma_f32 v2, v78, s15, -v100
	v_add_f32_e32 v0, v2, v0
	v_add_u32_e32 v2, 0xc00, v45
	ds_read2_b64 v[32:35], v2 offset0:120 offset1:176
	ds_read2_b64 v[36:39], v64 offset0:136 offset1:192
	v_add_f32_e32 v97, v25, v31
	v_mul_f32_e32 v103, 0xbe8c1d8e, v97
	v_sub_f32_e32 v83, v30, v24
	v_mov_b32_e32 v2, v103
	s_waitcnt lgkmcnt(0)
	v_sub_f32_e32 v98, v37, v35
	v_fmac_f32_e32 v2, 0x3f763a35, v83
	v_add_f32_e32 v85, v34, v36
	v_mul_f32_e32 v104, 0x3f65296c, v98
	v_add_f32_e32 v101, v35, v37
	v_add_f32_e32 v1, v2, v1
	v_fma_f32 v2, v85, s16, -v104
	v_mul_f32_e32 v106, 0x3ee437d1, v101
	v_add_f32_e32 v0, v2, v0
	v_sub_f32_e32 v90, v36, v34
	v_mov_b32_e32 v2, v106
	v_add_f32_e32 v105, v33, v39
	v_sub_f32_e32 v102, v39, v33
	v_fmac_f32_e32 v2, 0x3f65296c, v90
	v_mul_f32_e32 v108, 0x3f6eb680, v105
	v_add_f32_e32 v93, v32, v38
	v_mul_f32_e32 v107, 0x3eb8f4ab, v102
	v_add_f32_e32 v1, v2, v1
	v_sub_f32_e32 v95, v38, v32
	v_mov_b32_e32 v3, v108
	v_fma_f32 v2, v93, s17, -v107
	v_mul_f32_e32 v109, 0xbf65296c, v66
	v_fmac_f32_e32 v3, 0x3eb8f4ab, v95
	v_add_f32_e32 v2, v2, v0
	v_fma_f32 v0, v59, s16, -v109
	v_mul_f32_e32 v110, 0xbf4c4adb, v67
	v_add_f32_e32 v3, v3, v1
	v_add_f32_e32 v0, v48, v0
	v_fma_f32 v1, v60, s8, -v110
	v_mul_f32_e32 v111, 0x3e3c28d5, v74
	v_add_f32_e32 v0, v1, v0
	v_fma_f32 v1, v65, s9, -v111
	v_mul_f32_e32 v112, 0x3f763a35, v81
	v_add_f32_e32 v0, v1, v0
	v_fma_f32 v1, v69, s15, -v112
	v_mul_f32_e32 v113, 0x3f2c7751, v87
	v_add_f32_e32 v0, v1, v0
	v_fma_f32 v1, v73, s6, -v113
	v_mul_f32_e32 v114, 0xbeb8f4ab, v91
	v_add_f32_e32 v0, v1, v0
	v_fma_f32 v1, v78, s17, -v114
	v_mul_f32_e32 v115, 0xbf7ee86f, v98
	v_add_f32_e32 v0, v1, v0
	v_fma_f32 v1, v85, s7, -v115
	v_mul_f32_e32 v116, 0xbf06c442, v102
	v_add_f32_e32 v0, v1, v0
	v_fma_f32 v1, v93, s14, -v116
	v_mul_f32_e32 v117, 0x3ee437d1, v71
	v_add_f32_e32 v0, v1, v0
	v_mov_b32_e32 v1, v117
	v_mul_f32_e32 v118, 0xbf1a4643, v72
	v_fmac_f32_e32 v1, 0xbf65296c, v61
	v_mov_b32_e32 v4, v118
	v_add_f32_e32 v1, v49, v1
	v_fmac_f32_e32 v4, 0xbf4c4adb, v63
	v_mul_f32_e32 v119, 0xbf7ba420, v82
	v_add_f32_e32 v1, v4, v1
	v_mov_b32_e32 v4, v119
	v_fmac_f32_e32 v4, 0x3e3c28d5, v68
	v_mul_f32_e32 v120, 0xbe8c1d8e, v86
	v_add_f32_e32 v1, v4, v1
	v_mov_b32_e32 v4, v120
	;; [unrolled: 4-line block ×6, first 2 shown]
	v_fmac_f32_e32 v4, 0xbf06c442, v95
	v_mul_f32_e32 v125, 0xbf7ee86f, v66
	v_add_f32_e32 v1, v4, v1
	v_fma_f32 v4, v59, s7, -v125
	v_mul_f32_e32 v126, 0xbe3c28d5, v67
	v_add_f32_e32 v4, v48, v4
	v_fma_f32 v5, v60, s9, -v126
	v_mul_f32_e32 v130, 0x3dbcf732, v71
	v_add_f32_e32 v4, v5, v4
	v_mov_b32_e32 v5, v130
	v_mul_f32_e32 v131, 0xbf7ba420, v72
	v_fmac_f32_e32 v5, 0xbf7ee86f, v61
	v_mov_b32_e32 v6, v131
	v_add_f32_e32 v5, v49, v5
	v_fmac_f32_e32 v6, 0xbe3c28d5, v63
	v_mul_f32_e32 v127, 0x3f763a35, v74
	v_add_f32_e32 v5, v6, v5
	v_fma_f32 v6, v65, s15, -v127
	v_mul_f32_e32 v133, 0xbe8c1d8e, v82
	v_add_f32_e32 v4, v6, v4
	v_mov_b32_e32 v6, v133
	v_fmac_f32_e32 v6, 0x3f763a35, v68
	v_mul_f32_e32 v128, 0x3eb8f4ab, v81
	v_add_f32_e32 v5, v6, v5
	v_fma_f32 v6, v69, s17, -v128
	v_mul_f32_e32 v135, 0x3f6eb680, v86
	v_add_f32_e32 v4, v6, v4
	v_mov_b32_e32 v6, v135
	;; [unrolled: 7-line block ×5, first 2 shown]
	v_fmac_f32_e32 v6, 0x3f4c4adb, v90
	v_mul_f32_e32 v140, 0x3f3d2fb0, v105
	v_mul_f32_e32 v137, 0x3f2c7751, v102
	v_add_f32_e32 v5, v6, v5
	v_mov_b32_e32 v7, v140
	v_fma_f32 v6, v93, s6, -v137
	v_mul_f32_e32 v141, 0xbf763a35, v66
	v_fmac_f32_e32 v7, 0x3f2c7751, v95
	v_add_f32_e32 v6, v6, v4
	v_fma_f32 v4, v59, s15, -v141
	v_mul_f32_e32 v142, 0x3f06c442, v67
	v_add_f32_e32 v7, v7, v5
	v_add_f32_e32 v4, v48, v4
	v_fma_f32 v5, v60, s14, -v142
	v_mul_f32_e32 v143, 0x3f2c7751, v74
	v_add_f32_e32 v4, v5, v4
	v_fma_f32 v5, v65, s6, -v143
	v_mul_f32_e32 v144, 0xbf65296c, v81
	;; [unrolled: 3-line block ×7, first 2 shown]
	v_add_f32_e32 v4, v5, v4
	v_mov_b32_e32 v5, v149
	v_mul_f32_e32 v150, 0xbf59a7d5, v72
	v_fmac_f32_e32 v5, 0xbf763a35, v61
	v_mov_b32_e32 v50, v150
	v_add_f32_e32 v5, v49, v5
	v_fmac_f32_e32 v50, 0x3f06c442, v63
	v_mul_f32_e32 v151, 0x3f3d2fb0, v82
	v_add_f32_e32 v5, v50, v5
	v_mov_b32_e32 v50, v151
	v_fmac_f32_e32 v50, 0x3f2c7751, v68
	v_mul_f32_e32 v152, 0x3ee437d1, v86
	v_add_f32_e32 v5, v50, v5
	v_mov_b32_e32 v50, v152
	;; [unrolled: 4-line block ×6, first 2 shown]
	v_fmac_f32_e32 v50, 0xbf4c4adb, v95
	v_add_f32_e32 v5, v50, v5
	s_barrier
	s_and_saveexec_b64 s[4:5], vcc
	s_cbranch_execz .LBB0_20
; %bb.19:
	v_mul_f32_e32 v163, 0xbf4c4adb, v61
	v_mov_b32_e32 v50, v163
	v_mul_f32_e32 v164, 0x3f763a35, v63
	v_fmac_f32_e32 v50, 0xbf1a4643, v71
	v_mov_b32_e32 v51, v164
	v_add_f32_e32 v50, v49, v50
	v_fmac_f32_e32 v51, 0xbe8c1d8e, v72
	v_mul_f32_e32 v213, 0xbeb8f4ab, v68
	v_add_f32_e32 v50, v51, v50
	v_mov_b32_e32 v51, v213
	v_fmac_f32_e32 v51, 0x3f6eb680, v82
	v_mul_f32_e32 v214, 0xbf06c442, v70
	v_add_f32_e32 v50, v51, v50
	v_mov_b32_e32 v51, v214
	;; [unrolled: 4-line block ×6, first 2 shown]
	v_fmac_f32_e32 v51, 0x3ee437d1, v105
	v_mul_f32_e32 v219, 0xbf4c4adb, v66
	v_add_f32_e32 v51, v51, v50
	v_fma_f32 v50, v59, s8, -v219
	v_mul_f32_e32 v220, 0x3f763a35, v67
	v_add_f32_e32 v50, v48, v50
	v_fma_f32 v52, v60, s15, -v220
	;; [unrolled: 3-line block ×8, first 2 shown]
	v_mul_f32_e32 v161, 0xbf06c442, v61
	v_add_f32_e32 v50, v52, v50
	v_mov_b32_e32 v52, v161
	v_mul_f32_e32 v162, 0x3f65296c, v63
	v_fmac_f32_e32 v52, 0xbf59a7d5, v71
	v_mov_b32_e32 v53, v162
	v_add_f32_e32 v52, v49, v52
	v_fmac_f32_e32 v53, 0x3ee437d1, v72
	v_mul_f32_e32 v227, 0xbf7ee86f, v68
	v_add_f32_e32 v52, v53, v52
	v_mov_b32_e32 v53, v227
	v_fmac_f32_e32 v53, 0x3dbcf732, v82
	v_mul_f32_e32 v228, 0x3f4c4adb, v70
	v_add_f32_e32 v52, v53, v52
	v_mov_b32_e32 v53, v228
	;; [unrolled: 4-line block ×6, first 2 shown]
	v_fmac_f32_e32 v53, 0xbe8c1d8e, v105
	v_mul_f32_e32 v233, 0xbf06c442, v66
	v_add_f32_e32 v53, v53, v52
	v_fma_f32 v52, v59, s14, -v233
	v_mul_f32_e32 v234, 0x3f65296c, v67
	v_add_f32_e32 v52, v48, v52
	buffer_store_dword v157, off, s[28:31], 0 ; 4-byte Folded Spill
	v_fma_f32 v157, v60, s16, -v234
	v_mul_f32_e32 v235, 0xbf7ee86f, v74
	v_add_f32_e32 v52, v157, v52
	v_fma_f32 v157, v65, s7, -v235
	v_mul_f32_e32 v236, 0x3f4c4adb, v81
	v_add_f32_e32 v52, v157, v52
	;; [unrolled: 3-line block ×7, first 2 shown]
	v_mov_b32_e32 v157, v159
	v_mul_f32_e32 v160, 0x3eb8f4ab, v63
	v_fmac_f32_e32 v157, 0xbf7ba420, v71
	v_mov_b32_e32 v158, v160
	v_add_f32_e32 v157, v49, v157
	v_fmac_f32_e32 v158, 0x3f6eb680, v72
	v_mul_f32_e32 v241, 0xbf06c442, v68
	v_add_f32_e32 v157, v158, v157
	v_mov_b32_e32 v158, v241
	v_fmac_f32_e32 v158, 0xbf59a7d5, v82
	v_mul_f32_e32 v242, 0x3f2c7751, v70
	v_add_f32_e32 v157, v158, v157
	v_mov_b32_e32 v158, v242
	;; [unrolled: 4-line block ×4, first 2 shown]
	v_fmac_f32_e32 v158, 0x3ee437d1, v97
	v_mul_f32_e32 v245, 0xbf763a35, v90
	v_fma_f32 v159, v71, s9, -v159
	v_add_f32_e32 v157, v158, v157
	v_mov_b32_e32 v158, v245
	v_add_f32_e32 v159, v49, v159
	v_fma_f32 v160, v72, s17, -v160
	v_mul_f32_e32 v167, 0x3ee437d1, v59
	v_fmac_f32_e32 v158, 0xbe8c1d8e, v101
	v_mul_f32_e32 v246, 0x3f7ee86f, v95
	v_add_f32_e32 v159, v160, v159
	v_fma_f32 v160, v82, s14, -v241
	v_mul_f32_e32 v175, 0xbf1a4643, v60
	v_add_f32_e32 v157, v158, v157
	v_mov_b32_e32 v158, v246
	v_add_f32_e32 v159, v160, v159
	v_fma_f32 v160, v86, s6, -v242
	v_add_f32_e32 v109, v167, v109
	v_mul_f32_e32 v183, 0xbf7ba420, v65
	v_fmac_f32_e32 v158, 0x3dbcf732, v105
	v_mul_f32_e32 v247, 0xbe3c28d5, v66
	v_add_f32_e32 v159, v160, v159
	v_fma_f32 v160, v94, s8, -v243
	v_add_f32_e32 v109, v48, v109
	v_add_f32_e32 v110, v175, v110
	v_mul_f32_e32 v191, 0xbe8c1d8e, v69
	v_add_f32_e32 v158, v158, v157
	v_fma_f32 v157, v59, s9, -v247
	v_mul_f32_e32 v248, 0x3eb8f4ab, v67
	v_add_f32_e32 v159, v160, v159
	v_fma_f32 v160, v97, s16, -v244
	v_add_f32_e32 v109, v110, v109
	v_add_f32_e32 v110, v183, v111
	v_mul_f32_e32 v199, 0x3f3d2fb0, v73
	v_add_f32_e32 v157, v48, v157
	v_fma_f32 v249, v60, s17, -v248
	v_add_f32_e32 v159, v160, v159
	v_fma_f32 v160, v101, s15, -v245
	v_fmac_f32_e32 v247, 0xbf7ba420, v59
	v_add_f32_e32 v109, v110, v109
	v_add_f32_e32 v110, v191, v112
	v_mul_f32_e32 v207, 0x3f6eb680, v78
	v_add_f32_e32 v157, v249, v157
	v_mul_f32_e32 v249, 0xbf06c442, v74
	v_add_f32_e32 v159, v160, v159
	v_add_f32_e32 v160, v48, v247
	v_fmac_f32_e32 v248, 0x3f6eb680, v60
	v_add_f32_e32 v109, v110, v109
	v_add_f32_e32 v110, v199, v113
	v_fma_f32 v250, v65, s14, -v249
	v_mul_f32_e32 v54, 0x3dbcf732, v85
	v_add_f32_e32 v160, v248, v160
	v_fmac_f32_e32 v249, 0xbf59a7d5, v65
	v_add_f32_e32 v109, v110, v109
	v_add_f32_e32 v110, v207, v114
	;; [unrolled: 1-line block ×3, first 2 shown]
	v_mul_f32_e32 v249, 0xbf59a7d5, v93
	v_add_f32_e32 v109, v110, v109
	v_add_f32_e32 v54, v54, v115
	v_mul_f32_e32 v166, 0xbf2c7751, v61
	v_add_f32_e32 v54, v54, v109
	v_add_f32_e32 v109, v249, v116
	v_mul_f32_e32 v174, 0xbf7ee86f, v63
	v_add_f32_e32 v116, v109, v54
	v_sub_f32_e32 v54, v79, v166
	v_mul_f32_e32 v182, 0xbf4c4adb, v68
	v_add_f32_e32 v54, v49, v54
	v_sub_f32_e32 v79, v80, v174
	;; [unrolled: 3-line block ×4, first 2 shown]
	v_add_f32_e32 v13, v49, v13
	v_mul_f32_e32 v206, 0x3f763a35, v83
	v_add_f32_e32 v157, v250, v157
	v_mul_f32_e32 v250, 0x3f2c7751, v81
	v_add_f32_e32 v54, v79, v54
	v_sub_f32_e32 v79, v99, v198
	v_add_f32_e32 v13, v13, v15
	v_fma_f32 v251, v69, s6, -v250
	v_mul_f32_e32 v57, 0x3f65296c, v90
	v_add_f32_e32 v54, v79, v54
	v_sub_f32_e32 v79, v103, v206
	v_add_f32_e32 v13, v13, v21
	v_add_f32_e32 v157, v251, v157
	v_mul_f32_e32 v251, 0xbf4c4adb, v87
	v_mul_f32_e32 v248, 0x3eb8f4ab, v95
	v_add_f32_e32 v54, v79, v54
	v_sub_f32_e32 v57, v106, v57
	v_add_f32_e32 v13, v13, v23
	v_fma_f32 v252, v73, s8, -v251
	v_add_f32_e32 v54, v57, v54
	v_sub_f32_e32 v57, v108, v248
	v_add_f32_e32 v13, v13, v29
	v_add_f32_e32 v157, v252, v157
	v_mul_f32_e32 v252, 0x3f65296c, v91
	v_add_f32_e32 v80, v57, v54
	v_mul_f32_e32 v54, 0x3f3d2fb0, v59
	;; [unrolled: 2-line block ×3, first 2 shown]
	v_fma_f32 v253, v78, s16, -v252
	v_add_f32_e32 v54, v54, v76
	v_add_f32_e32 v13, v13, v37
	v_mul_f32_e32 v181, 0xbf1a4643, v65
	v_add_f32_e32 v157, v253, v157
	v_mul_f32_e32 v253, 0xbf763a35, v98
	v_add_f32_e32 v54, v48, v54
	v_add_f32_e32 v57, v173, v75
	;; [unrolled: 1-line block ×3, first 2 shown]
	v_mul_f32_e32 v189, 0xbf7ba420, v69
	v_fma_f32 v254, v85, s15, -v253
	v_add_f32_e32 v54, v57, v54
	v_add_f32_e32 v57, v181, v84
	;; [unrolled: 1-line block ×3, first 2 shown]
	v_mul_f32_e32 v197, 0xbf59a7d5, v73
	v_add_f32_e32 v157, v254, v157
	v_mul_f32_e32 v254, 0x3f7ee86f, v102
	v_add_f32_e32 v54, v57, v54
	v_add_f32_e32 v57, v189, v89
	v_add_f32_e32 v13, v13, v35
	v_mul_f32_e32 v205, 0xbe8c1d8e, v78
	v_fma_f32 v255, v93, s7, -v254
	v_add_f32_e32 v54, v57, v54
	v_add_f32_e32 v57, v197, v96
	;; [unrolled: 1-line block ×4, first 2 shown]
	v_mul_f32_e32 v255, 0x3ee437d1, v85
	v_add_f32_e32 v54, v57, v54
	v_add_f32_e32 v57, v205, v100
	;; [unrolled: 1-line block ×3, first 2 shown]
	v_mul_f32_e32 v247, 0x3f6eb680, v93
	v_add_f32_e32 v54, v57, v54
	v_add_f32_e32 v57, v255, v104
	;; [unrolled: 1-line block ×7, first 2 shown]
	v_mul_f32_e32 v54, 0x3f6eb680, v71
	v_add_f32_e32 v9, v13, v9
	v_mov_b32_e32 v57, v54
	v_mul_f32_e32 v75, 0x3f3d2fb0, v72
	v_add_f32_e32 v9, v9, v11
	v_add_f32_e32 v11, v48, v12
	v_fma_f32 v161, v71, s14, -v161
	v_fma_f32 v163, v71, s8, -v163
	v_fmac_f32_e32 v57, 0x3eb8f4ab, v61
	v_mov_b32_e32 v71, v75
	v_add_f32_e32 v11, v11, v14
	v_add_f32_e32 v57, v49, v57
	v_fmac_f32_e32 v71, 0x3f2c7751, v63
	v_mul_f32_e32 v76, 0x3ee437d1, v82
	v_add_f32_e32 v11, v11, v20
	v_add_f32_e32 v161, v49, v161
	v_fma_f32 v162, v72, s16, -v162
	v_add_f32_e32 v163, v49, v163
	v_fma_f32 v164, v72, s15, -v164
	v_add_f32_e32 v57, v71, v57
	v_mov_b32_e32 v71, v76
	v_add_f32_e32 v11, v11, v22
	v_add_f32_e32 v161, v162, v161
	v_fma_f32 v162, v82, s7, -v227
	v_add_f32_e32 v163, v164, v163
	v_fma_f32 v164, v82, s17, -v213
	v_fmac_f32_e32 v71, 0x3f65296c, v68
	v_mul_f32_e32 v82, 0x3dbcf732, v86
	v_add_f32_e32 v11, v11, v28
	v_add_f32_e32 v57, v71, v57
	v_mov_b32_e32 v71, v82
	v_add_f32_e32 v11, v11, v30
	v_fmac_f32_e32 v71, 0x3f7ee86f, v70
	v_mul_f32_e32 v84, 0xbe8c1d8e, v94
	v_add_f32_e32 v11, v11, v36
	v_add_f32_e32 v57, v71, v57
	v_mov_b32_e32 v71, v84
	v_add_f32_e32 v11, v11, v38
	v_add_f32_e32 v161, v162, v161
	v_fma_f32 v162, v86, s8, -v228
	v_add_f32_e32 v163, v164, v163
	v_fma_f32 v164, v86, s14, -v214
	v_fmac_f32_e32 v71, 0x3f763a35, v77
	v_mul_f32_e32 v86, 0xbf1a4643, v97
	v_add_f32_e32 v11, v11, v32
	v_add_f32_e32 v57, v71, v57
	v_mov_b32_e32 v71, v86
	v_add_f32_e32 v11, v11, v34
	v_fmac_f32_e32 v71, 0x3f4c4adb, v83
	v_mul_f32_e32 v88, 0xbf59a7d5, v101
	v_add_f32_e32 v11, v11, v24
	v_add_f32_e32 v57, v71, v57
	v_mov_b32_e32 v71, v88
	v_add_f32_e32 v11, v11, v26
	v_fmac_f32_e32 v71, 0x3f06c442, v90
	v_mul_f32_e32 v89, 0xbf7ba420, v105
	v_add_f32_e32 v11, v11, v16
	v_add_f32_e32 v57, v71, v57
	v_mov_b32_e32 v71, v89
	v_add_f32_e32 v11, v11, v18
	v_fmac_f32_e32 v71, 0x3e3c28d5, v95
	v_add_f32_e32 v8, v11, v8
	v_fmac_f32_e32 v54, 0xbeb8f4ab, v61
	v_add_f32_e32 v72, v71, v57
	v_mul_f32_e32 v57, 0xbeb8f4ab, v66
	v_add_f32_e32 v8, v8, v10
	v_add_f32_e32 v10, v49, v54
	v_fmac_f32_e32 v75, 0xbf2c7751, v63
	v_mov_b32_e32 v66, v57
	v_mul_f32_e32 v67, 0xbf2c7751, v67
	v_add_f32_e32 v10, v75, v10
	v_fmac_f32_e32 v76, 0xbf65296c, v68
	v_fmac_f32_e32 v66, 0x3f6eb680, v59
	v_mov_b32_e32 v71, v67
	v_add_f32_e32 v10, v76, v10
	v_fmac_f32_e32 v82, 0xbf7ee86f, v70
	v_add_f32_e32 v66, v48, v66
	v_fmac_f32_e32 v71, 0x3f3d2fb0, v60
	v_mul_f32_e32 v74, 0xbf65296c, v74
	v_add_f32_e32 v10, v82, v10
	v_fmac_f32_e32 v84, 0xbf763a35, v77
	v_add_f32_e32 v66, v71, v66
	v_mov_b32_e32 v71, v74
	v_add_f32_e32 v10, v84, v10
	v_fmac_f32_e32 v86, 0xbf4c4adb, v83
	v_fmac_f32_e32 v71, 0x3ee437d1, v65
	v_mul_f32_e32 v81, 0xbf7ee86f, v81
	v_add_f32_e32 v10, v86, v10
	v_fmac_f32_e32 v88, 0xbf06c442, v90
	v_add_f32_e32 v161, v162, v161
	v_fma_f32 v162, v94, s17, -v229
	v_add_f32_e32 v163, v164, v163
	v_fma_f32 v164, v94, s7, -v215
	v_add_f32_e32 v66, v71, v66
	v_mov_b32_e32 v71, v81
	v_add_f32_e32 v10, v88, v10
	v_fmac_f32_e32 v89, 0xbe3c28d5, v95
	v_add_f32_e32 v161, v162, v161
	v_fma_f32 v162, v97, s9, -v230
	v_add_f32_e32 v163, v164, v163
	v_fma_f32 v164, v97, s6, -v216
	v_fmac_f32_e32 v71, 0x3dbcf732, v69
	v_mul_f32_e32 v87, 0xbf763a35, v87
	v_add_f32_e32 v11, v89, v10
	v_fma_f32 v10, v59, s17, -v57
	v_mul_f32_e32 v168, 0xbf65296c, v61
	v_mul_f32_e32 v169, 0x3dbcf732, v59
	;; [unrolled: 1-line block ×5, first 2 shown]
	v_add_f32_e32 v161, v162, v161
	v_fma_f32 v162, v101, s6, -v231
	v_add_f32_e32 v163, v164, v163
	v_fma_f32 v164, v101, s9, -v217
	v_add_f32_e32 v66, v71, v66
	v_mov_b32_e32 v71, v87
	v_add_f32_e32 v10, v48, v10
	v_fma_f32 v12, v60, s6, -v67
	v_mul_f32_e32 v176, 0xbf4c4adb, v63
	v_mul_f32_e32 v177, 0xbf7ba420, v60
	;; [unrolled: 1-line block ×5, first 2 shown]
	v_add_f32_e32 v161, v162, v161
	v_fma_f32 v162, v105, s15, -v232
	v_fmac_f32_e32 v233, 0xbf59a7d5, v59
	v_add_f32_e32 v163, v164, v163
	v_fma_f32 v164, v105, s16, -v218
	v_fmac_f32_e32 v219, 0xbf1a4643, v59
	v_sub_f32_e32 v149, v149, v172
	v_add_f32_e32 v141, v171, v141
	v_sub_f32_e32 v130, v130, v170
	v_add_f32_e32 v125, v169, v125
	v_sub_f32_e32 v117, v117, v168
	v_fmac_f32_e32 v71, 0xbe8c1d8e, v73
	v_mul_f32_e32 v91, 0xbf4c4adb, v91
	v_add_f32_e32 v10, v12, v10
	v_fma_f32 v12, v65, s16, -v74
	v_mul_f32_e32 v184, 0x3e3c28d5, v68
	v_mul_f32_e32 v185, 0xbe8c1d8e, v65
	;; [unrolled: 1-line block ×5, first 2 shown]
	v_fmac_f32_e32 v250, 0x3f3d2fb0, v69
	v_add_f32_e32 v162, v162, v161
	v_add_f32_e32 v161, v48, v233
	v_fmac_f32_e32 v234, 0x3ee437d1, v60
	v_add_f32_e32 v164, v164, v163
	v_add_f32_e32 v163, v48, v219
	v_fmac_f32_e32 v220, 0xbe8c1d8e, v60
	v_add_f32_e32 v149, v49, v149
	v_sub_f32_e32 v150, v150, v180
	v_add_f32_e32 v141, v48, v141
	v_add_f32_e32 v142, v179, v142
	;; [unrolled: 1-line block ×3, first 2 shown]
	v_sub_f32_e32 v131, v131, v178
	v_add_f32_e32 v125, v48, v125
	v_add_f32_e32 v126, v177, v126
	;; [unrolled: 1-line block ×3, first 2 shown]
	v_sub_f32_e32 v118, v118, v176
	v_add_f32_e32 v66, v71, v66
	v_mov_b32_e32 v71, v91
	v_add_f32_e32 v10, v12, v10
	v_fma_f32 v12, v69, s7, -v81
	v_mul_f32_e32 v192, 0x3f763a35, v70
	v_mul_f32_e32 v193, 0x3f6eb680, v69
	;; [unrolled: 1-line block ×5, first 2 shown]
	v_add_f32_e32 v160, v250, v160
	v_fmac_f32_e32 v251, 0xbf1a4643, v73
	v_add_f32_e32 v161, v234, v161
	v_fmac_f32_e32 v235, 0x3dbcf732, v65
	;; [unrolled: 2-line block ×3, first 2 shown]
	v_add_f32_e32 v149, v150, v149
	v_sub_f32_e32 v150, v151, v188
	v_add_f32_e32 v141, v142, v141
	v_add_f32_e32 v142, v187, v143
	;; [unrolled: 1-line block ×3, first 2 shown]
	v_sub_f32_e32 v131, v133, v186
	v_add_f32_e32 v125, v126, v125
	v_add_f32_e32 v126, v185, v127
	;; [unrolled: 1-line block ×3, first 2 shown]
	v_sub_f32_e32 v118, v119, v184
	v_fmac_f32_e32 v71, 0xbf1a4643, v78
	v_mul_f32_e32 v92, 0xbf06c442, v98
	v_add_f32_e32 v10, v12, v10
	v_fma_f32 v12, v73, s15, -v87
	v_mul_f32_e32 v200, 0x3f2c7751, v77
	v_mul_f32_e32 v201, 0x3ee437d1, v73
	;; [unrolled: 1-line block ×5, first 2 shown]
	v_add_f32_e32 v160, v251, v160
	v_fmac_f32_e32 v252, 0x3ee437d1, v78
	v_add_f32_e32 v161, v235, v161
	v_fmac_f32_e32 v236, 0xbf1a4643, v69
	;; [unrolled: 2-line block ×3, first 2 shown]
	v_add_f32_e32 v149, v150, v149
	v_sub_f32_e32 v150, v152, v196
	v_add_f32_e32 v141, v142, v141
	v_add_f32_e32 v142, v195, v144
	v_add_f32_e32 v130, v131, v130
	v_sub_f32_e32 v131, v135, v194
	v_add_f32_e32 v125, v126, v125
	v_add_f32_e32 v126, v193, v128
	v_add_f32_e32 v117, v118, v117
	v_sub_f32_e32 v118, v120, v192
	v_add_f32_e32 v66, v71, v66
	v_mov_b32_e32 v71, v92
	v_add_f32_e32 v10, v12, v10
	v_fma_f32 v12, v78, s8, -v91
	v_mul_f32_e32 v208, 0xbeb8f4ab, v83
	v_mul_f32_e32 v209, 0xbf59a7d5, v78
	;; [unrolled: 1-line block ×5, first 2 shown]
	v_add_f32_e32 v160, v252, v160
	v_fmac_f32_e32 v253, 0xbe8c1d8e, v85
	v_add_f32_e32 v161, v236, v161
	v_fmac_f32_e32 v237, 0x3f6eb680, v73
	;; [unrolled: 2-line block ×3, first 2 shown]
	v_add_f32_e32 v149, v150, v149
	v_sub_f32_e32 v150, v153, v204
	v_add_f32_e32 v141, v142, v141
	v_add_f32_e32 v142, v203, v145
	;; [unrolled: 1-line block ×3, first 2 shown]
	v_sub_f32_e32 v131, v136, v202
	v_add_f32_e32 v125, v126, v125
	v_add_f32_e32 v126, v201, v129
	;; [unrolled: 1-line block ×3, first 2 shown]
	v_sub_f32_e32 v118, v121, v200
	v_fmac_f32_e32 v71, 0xbf59a7d5, v85
	v_mul_f32_e32 v94, 0xbe3c28d5, v102
	v_add_f32_e32 v10, v12, v10
	v_fma_f32 v12, v85, s14, -v92
	v_mul_f32_e32 v241, 0xbf7ee86f, v90
	v_mul_f32_e32 v242, 0xbf1a4643, v85
	;; [unrolled: 1-line block ×5, first 2 shown]
	v_add_f32_e32 v252, v253, v160
	v_fma_f32 v160, v105, s7, -v246
	v_fmac_f32_e32 v254, 0x3dbcf732, v93
	v_add_f32_e32 v161, v237, v161
	v_fmac_f32_e32 v238, 0xbf7ba420, v78
	v_add_f32_e32 v163, v223, v163
	;; [unrolled: 2-line block ×3, first 2 shown]
	v_sub_f32_e32 v150, v154, v212
	v_add_f32_e32 v141, v142, v141
	v_add_f32_e32 v142, v211, v146
	;; [unrolled: 1-line block ×3, first 2 shown]
	v_sub_f32_e32 v131, v138, v210
	v_add_f32_e32 v125, v126, v125
	v_add_f32_e32 v126, v209, v132
	;; [unrolled: 1-line block ×3, first 2 shown]
	v_sub_f32_e32 v118, v122, v208
	v_add_f32_e32 v66, v71, v66
	v_mov_b32_e32 v71, v94
	v_add_f32_e32 v10, v12, v10
	v_fma_f32 v12, v93, s9, -v94
	v_mul_f32_e32 v250, 0xbf06c442, v95
	v_mul_f32_e32 v251, 0x3f3d2fb0, v93
	;; [unrolled: 1-line block ×3, first 2 shown]
	v_add_f32_e32 v160, v160, v159
	v_add_f32_e32 v159, v254, v252
	v_mul_f32_e32 v246, 0xbf1a4643, v93
	v_mul_f32_e32 v252, 0xbf4c4adb, v95
	v_add_f32_e32 v161, v238, v161
	v_fmac_f32_e32 v239, 0x3f3d2fb0, v85
	v_add_f32_e32 v163, v224, v163
	v_fmac_f32_e32 v225, 0xbf7ba420, v85
	v_add_f32_e32 v149, v150, v149
	v_sub_f32_e32 v150, v155, v245
	v_add_f32_e32 v141, v142, v141
	v_add_f32_e32 v142, v244, v147
	;; [unrolled: 1-line block ×3, first 2 shown]
	v_sub_f32_e32 v131, v139, v243
	v_add_f32_e32 v125, v126, v125
	v_add_f32_e32 v126, v242, v134
	;; [unrolled: 1-line block ×3, first 2 shown]
	v_sub_f32_e32 v118, v123, v241
	v_fmac_f32_e32 v71, 0xbf7ba420, v93
	v_add_f32_e32 v10, v12, v10
	v_mul_u32_u24_e32 v12, 0x88, v44
	v_add_f32_e32 v161, v239, v161
	v_fmac_f32_e32 v240, 0xbe8c1d8e, v93
	v_add_f32_e32 v163, v225, v163
	v_fmac_f32_e32 v226, 0x3ee437d1, v93
	v_add_f32_e32 v149, v150, v149
	v_sub_f32_e32 v150, v156, v252
	v_add_f32_e32 v141, v142, v141
	v_add_f32_e32 v142, v246, v148
	;; [unrolled: 1-line block ×3, first 2 shown]
	v_sub_f32_e32 v131, v140, v253
	v_add_f32_e32 v125, v126, v125
	v_add_f32_e32 v126, v251, v137
	;; [unrolled: 1-line block ×3, first 2 shown]
	v_sub_f32_e32 v118, v124, v250
	v_add_f32_e32 v71, v71, v66
	v_add3_u32 v12, 0, v12, v55
	v_add_f32_e32 v161, v240, v161
	v_add_f32_e32 v163, v226, v163
	;; [unrolled: 1-line block ×7, first 2 shown]
	ds_write2_b64 v12, v[8:9], v[71:72] offset1:1
	ds_write2_b64 v12, v[79:80], v[116:117] offset0:2 offset1:3
	ds_write2_b64 v12, v[129:130], v[148:149] offset0:4 offset1:5
	ds_write2_b64 v12, v[163:164], v[161:162] offset0:6 offset1:7
	ds_write2_b64 v12, v[159:160], v[157:158] offset0:8 offset1:9
	buffer_load_dword v157, off, s[28:31], 0 ; 4-byte Folded Reload
	ds_write2_b64 v12, v[52:53], v[50:51] offset0:10 offset1:11
	ds_write2_b64 v12, v[4:5], v[6:7] offset0:12 offset1:13
	ds_write2_b64 v12, v[0:1], v[2:3] offset0:14 offset1:15
	ds_write_b64 v12, v[10:11] offset:128
.LBB0_20:
	s_or_b64 exec, exec, s[4:5]
	v_add_u32_e32 v8, 0x400, v45
	s_waitcnt vmcnt(0) lgkmcnt(0)
	s_barrier
	ds_read2_b64 v[16:19], v8 offset0:110 offset1:178
	ds_read2_b64 v[12:15], v64 offset0:118 offset1:220
	;; [unrolled: 1-line block ×5, first 2 shown]
	ds_read_b64 v[28:29], v56
	ds_read_b64 v[30:31], v45 offset:6800
	v_cmp_gt_u32_e32 vcc, 34, v44
	s_and_saveexec_b64 s[4:5], vcc
	s_cbranch_execz .LBB0_22
; %bb.21:
	v_add_u32_e32 v0, 0x600, v45
	ds_read2_b64 v[4:7], v0 offset0:12 offset1:250
	v_add_u32_e32 v0, 0x1500, v45
	ds_read2_b64 v[0:3], v0 offset0:8 offset1:246
.LBB0_22:
	s_or_b64 exec, exec, s[4:5]
	s_movk_i32 s7, 0xf1
	v_mul_lo_u16_sdwa v32, v44, s7 dst_sel:DWORD dst_unused:UNUSED_PAD src0_sel:BYTE_0 src1_sel:DWORD
	v_lshrrev_b16_e32 v54, 12, v32
	v_mul_lo_u16_e32 v32, 17, v54
	v_sub_u16_e32 v57, v44, v32
	v_mov_b32_e32 v32, 3
	v_mul_u32_u24_sdwa v33, v57, v32 dst_sel:DWORD dst_unused:UNUSED_PAD src0_sel:BYTE_0 src1_sel:DWORD
	v_lshlrev_b32_e32 v33, 3, v33
	global_load_dwordx2 v[52:53], v33, s[12:13] offset:16
	global_load_dwordx4 v[36:39], v33, s[12:13]
	v_add_u16_e32 v33, 0x44, v44
	v_mul_lo_u16_sdwa v34, v33, s7 dst_sel:DWORD dst_unused:UNUSED_PAD src0_sel:BYTE_0 src1_sel:DWORD
	v_lshrrev_b16_e32 v66, 12, v34
	v_mul_lo_u16_e32 v34, 17, v66
	v_sub_u16_e32 v67, v33, v34
	v_mul_u32_u24_sdwa v33, v67, v32 dst_sel:DWORD dst_unused:UNUSED_PAD src0_sel:BYTE_0 src1_sel:DWORD
	v_lshlrev_b32_e32 v33, 3, v33
	global_load_dwordx2 v[62:63], v33, s[12:13] offset:16
	global_load_dwordx4 v[48:51], v33, s[12:13]
	v_add_u16_e32 v33, 0x88, v44
	v_mul_lo_u16_sdwa v34, v33, s7 dst_sel:DWORD dst_unused:UNUSED_PAD src0_sel:BYTE_0 src1_sel:DWORD
	v_lshrrev_b16_e32 v68, 12, v34
	v_mul_lo_u16_e32 v34, 17, v68
	v_sub_u16_e32 v69, v33, v34
	v_mul_u32_u24_sdwa v34, v69, v32 dst_sel:DWORD dst_unused:UNUSED_PAD src0_sel:BYTE_0 src1_sel:DWORD
	v_lshlrev_b32_e32 v34, 3, v34
	global_load_dwordx4 v[58:61], v34, s[12:13]
	global_load_dwordx2 v[64:65], v34, s[12:13] offset:16
	s_movk_i32 s8, 0x220
	s_waitcnt vmcnt(0) lgkmcnt(0)
	s_barrier
	v_add_u32_e32 v34, 0xcc, v44
	s_mov_b32 s6, 0xf0f1
	v_mul_u32_u24_sdwa v35, v34, s6 dst_sel:DWORD dst_unused:UNUSED_PAD src0_sel:WORD_0 src1_sel:DWORD
	v_mul_f32_e32 v72, v53, v21
	v_mul_f32_e32 v70, v37, v17
	;; [unrolled: 1-line block ×6, first 2 shown]
	v_fmac_f32_e32 v70, v36, v16
	v_fma_f32 v16, v36, v17, -v37
	v_mul_f32_e32 v75, v63, v23
	v_mul_f32_e32 v73, v49, v19
	;; [unrolled: 1-line block ×6, first 2 shown]
	v_fmac_f32_e32 v71, v38, v14
	v_fma_f32 v14, v38, v15, -v39
	v_mul_f32_e32 v76, v59, v13
	v_fma_f32 v15, v52, v21, -v53
	v_fmac_f32_e32 v73, v48, v18
	v_fmac_f32_e32 v74, v50, v24
	;; [unrolled: 1-line block ×3, first 2 shown]
	v_mul_f32_e32 v59, v59, v12
	v_mul_f32_e32 v77, v61, v27
	;; [unrolled: 1-line block ×5, first 2 shown]
	v_fmac_f32_e32 v72, v52, v20
	v_fma_f32 v17, v48, v19, -v49
	v_fma_f32 v18, v50, v25, -v51
	;; [unrolled: 1-line block ×3, first 2 shown]
	v_fmac_f32_e32 v76, v58, v12
	v_sub_f32_e32 v20, v28, v71
	v_sub_f32_e32 v12, v16, v15
	;; [unrolled: 1-line block ×4, first 2 shown]
	v_fma_f32 v36, v58, v13, -v59
	v_fmac_f32_e32 v77, v60, v26
	v_fma_f32 v26, v60, v27, -v61
	v_fma_f32 v27, v31, v64, -v65
	v_sub_f32_e32 v13, v70, v72
	v_sub_f32_e32 v25, v9, v18
	v_fma_f32 v18, v28, 2.0, -v20
	v_fma_f32 v15, v16, 2.0, -v12
	;; [unrolled: 1-line block ×4, first 2 shown]
	v_sub_f32_e32 v21, v29, v14
	v_fma_f32 v14, v70, 2.0, -v13
	v_add_f32_e32 v12, v20, v12
	v_sub_f32_e32 v16, v28, v16
	v_sub_f32_e32 v31, v11, v26
	;; [unrolled: 1-line block ×4, first 2 shown]
	v_fma_f32 v14, v20, 2.0, -v12
	v_fma_f32 v20, v28, 2.0, -v16
	;; [unrolled: 1-line block ×4, first 2 shown]
	v_fmac_f32_e32 v78, v30, v64
	v_sub_f32_e32 v22, v17, v19
	v_fma_f32 v19, v29, 2.0, -v21
	v_sub_f32_e32 v30, v10, v77
	v_sub_f32_e32 v11, v28, v11
	;; [unrolled: 1-line block ×3, first 2 shown]
	v_fma_f32 v29, v9, 2.0, -v25
	v_fma_f32 v17, v17, 2.0, -v22
	v_sub_f32_e32 v9, v19, v15
	v_fma_f32 v27, v28, 2.0, -v11
	v_add_f32_e32 v28, v30, v37
	v_mad_u32_u24 v36, v54, s8, 0
	v_lshlrev_b32_sdwa v37, v32, v57 dst_sel:DWORD dst_unused:UNUSED_PAD src0_sel:DWORD src1_sel:BYTE_0
	v_fma_f32 v15, v21, 2.0, -v13
	v_sub_f32_e32 v17, v29, v17
	v_fma_f32 v18, v18, 2.0, -v8
	v_fma_f32 v19, v19, 2.0, -v9
	v_add3_u32 v36, v36, v37, v55
	v_fma_f32 v21, v29, 2.0, -v17
	v_add_f32_e32 v22, v24, v22
	v_sub_f32_e32 v23, v25, v23
	v_sub_f32_e32 v29, v76, v78
	ds_write2_b64 v36, v[18:19], v[14:15] offset1:17
	ds_write2_b64 v36, v[8:9], v[12:13] offset0:34 offset1:51
	v_mad_u32_u24 v8, v66, s8, 0
	v_lshlrev_b32_sdwa v9, v32, v67 dst_sel:DWORD dst_unused:UNUSED_PAD src0_sel:DWORD src1_sel:BYTE_0
	v_fma_f32 v24, v24, 2.0, -v22
	v_fma_f32 v25, v25, 2.0, -v23
	;; [unrolled: 1-line block ×4, first 2 shown]
	v_add3_u32 v8, v8, v9, v55
	v_sub_f32_e32 v10, v26, v10
	v_sub_f32_e32 v29, v31, v29
	ds_write2_b64 v8, v[20:21], v[24:25] offset1:17
	ds_write2_b64 v8, v[16:17], v[22:23] offset0:34 offset1:51
	v_mad_u32_u24 v8, v68, s8, 0
	v_lshlrev_b32_sdwa v9, v32, v69 dst_sel:DWORD dst_unused:UNUSED_PAD src0_sel:DWORD src1_sel:BYTE_0
	v_fma_f32 v26, v26, 2.0, -v10
	v_fma_f32 v30, v30, 2.0, -v28
	;; [unrolled: 1-line block ×3, first 2 shown]
	v_add3_u32 v8, v8, v9, v55
	ds_write2_b64 v8, v[26:27], v[30:31] offset1:17
	ds_write2_b64 v8, v[10:11], v[28:29] offset0:34 offset1:51
	s_and_saveexec_b64 s[4:5], vcc
	s_cbranch_execz .LBB0_24
; %bb.23:
	v_lshrrev_b32_e32 v8, 20, v35
	v_mul_lo_u16_e32 v8, 17, v8
	v_sub_u16_e32 v14, v34, v8
	v_mul_u32_u24_e32 v8, 3, v14
	v_lshlrev_b32_e32 v15, 3, v8
	global_load_dwordx4 v[8:11], v15, s[12:13]
	global_load_dwordx2 v[12:13], v15, s[12:13] offset:16
	v_mul_lo_u16_sdwa v15, v34, s7 dst_sel:DWORD dst_unused:UNUSED_PAD src0_sel:BYTE_0 src1_sel:DWORD
	v_lshrrev_b16_e32 v15, 12, v15
	v_mad_u32_u24 v15, v15, s8, 0
	v_lshlrev_b32_e32 v14, 3, v14
	v_add3_u32 v14, v15, v14, v55
	s_waitcnt vmcnt(1)
	v_mul_f32_e32 v15, v0, v11
	v_mul_f32_e32 v16, v7, v9
	s_waitcnt vmcnt(0)
	v_mul_f32_e32 v17, v3, v13
	v_mul_f32_e32 v11, v1, v11
	;; [unrolled: 1-line block ×4, first 2 shown]
	v_fma_f32 v1, v1, v10, -v15
	v_fmac_f32_e32 v16, v6, v8
	v_fmac_f32_e32 v17, v2, v12
	;; [unrolled: 1-line block ×3, first 2 shown]
	v_fma_f32 v2, v7, v8, -v9
	v_fma_f32 v0, v3, v12, -v13
	v_sub_f32_e32 v3, v5, v1
	v_sub_f32_e32 v6, v16, v17
	;; [unrolled: 1-line block ×4, first 2 shown]
	v_add_f32_e32 v0, v7, v8
	v_fma_f32 v9, v5, 2.0, -v3
	v_fma_f32 v5, v2, 2.0, -v8
	;; [unrolled: 1-line block ×4, first 2 shown]
	v_sub_f32_e32 v1, v3, v6
	v_sub_f32_e32 v5, v9, v5
	;; [unrolled: 1-line block ×3, first 2 shown]
	v_fma_f32 v3, v3, 2.0, -v1
	v_fma_f32 v2, v7, 2.0, -v0
	;; [unrolled: 1-line block ×4, first 2 shown]
	ds_write2_b64 v14, v[6:7], v[2:3] offset1:17
	ds_write2_b64 v14, v[4:5], v[0:1] offset0:34 offset1:51
.LBB0_24:
	s_or_b64 exec, exec, s[4:5]
	v_mov_b32_e32 v48, s13
	v_add_co_u32_e32 v0, vcc, s12, v46
	v_add_u32_e32 v2, 0x110, v44
	v_addc_co_u32_e32 v1, vcc, v48, v47, vcc
	s_movk_i32 s4, 0x79
	s_waitcnt lgkmcnt(0)
	s_barrier
	v_mul_lo_u16_sdwa v5, v33, s4 dst_sel:DWORD dst_unused:UNUSED_PAD src0_sel:BYTE_0 src1_sel:DWORD
	global_load_dwordx2 v[24:25], v[0:1], off offset:408
	v_mul_u32_u24_sdwa v0, v2, s6 dst_sel:DWORD dst_unused:UNUSED_PAD src0_sel:WORD_0 src1_sel:DWORD
	v_lshrrev_b16_e32 v5, 13, v5
	v_lshrrev_b32_e32 v0, 22, v0
	v_mul_lo_u16_e32 v5, 0x44, v5
	v_mul_lo_u16_e32 v0, 0x44, v0
	v_add_u32_e32 v3, 0x154, v44
	v_sub_u16_e32 v5, v33, v5
	v_sub_u16_e32 v0, v2, v0
	v_lshlrev_b32_sdwa v46, v32, v5 dst_sel:DWORD dst_unused:UNUSED_PAD src0_sel:DWORD src1_sel:BYTE_0
	v_lshrrev_b32_e32 v5, 22, v35
	v_lshlrev_b32_e32 v49, 3, v0
	v_mul_u32_u24_sdwa v0, v3, s6 dst_sel:DWORD dst_unused:UNUSED_PAD src0_sel:WORD_0 src1_sel:DWORD
	v_mul_lo_u16_e32 v5, 0x44, v5
	v_lshrrev_b32_e32 v0, 22, v0
	v_sub_u16_e32 v5, v34, v5
	v_mul_lo_u16_e32 v0, 0x44, v0
	v_add_u32_e32 v4, 0x198, v44
	v_lshlrev_b32_e32 v47, 3, v5
	global_load_dwordx2 v[26:27], v46, s[12:13] offset:408
	global_load_dwordx2 v[28:29], v47, s[12:13] offset:408
	;; [unrolled: 1-line block ×3, first 2 shown]
	v_sub_u16_e32 v0, v3, v0
	v_lshlrev_b32_e32 v50, 3, v0
	v_mul_u32_u24_sdwa v0, v4, s6 dst_sel:DWORD dst_unused:UNUSED_PAD src0_sel:WORD_0 src1_sel:DWORD
	v_lshrrev_b32_e32 v0, 22, v0
	v_mul_lo_u16_e32 v0, 0x44, v0
	v_sub_u16_e32 v0, v4, v0
	global_load_dwordx2 v[32:33], v50, s[12:13] offset:408
	v_lshlrev_b32_e32 v51, 3, v0
	global_load_dwordx2 v[34:35], v51, s[12:13] offset:408
	ds_read2_b64 v[0:3], v45 offset0:68 offset1:136
	v_add_u32_e32 v54, 0xc00, v45
	v_add_u32_e32 v52, 0x1000, v45
	;; [unrolled: 1-line block ×5, first 2 shown]
	ds_read_b64 v[36:37], v56
	ds_read_b64 v[38:39], v45 offset:7072
	ds_read2_b64 v[4:7], v54 offset0:92 offset1:160
	ds_read2_b64 v[8:11], v52 offset0:100 offset1:168
	;; [unrolled: 1-line block ×5, first 2 shown]
	s_waitcnt vmcnt(0) lgkmcnt(0)
	s_barrier
	s_movk_i32 s4, 0x1000
	s_mov_b32 s5, 0x3f3bfb3b
	s_mov_b32 s6, 0xbf3bfb3b
	;; [unrolled: 1-line block ×3, first 2 shown]
	v_mul_f32_e32 v57, v25, v5
	v_mul_f32_e32 v58, v25, v4
	;; [unrolled: 1-line block ×3, first 2 shown]
	v_fmac_f32_e32 v57, v24, v4
	v_mul_f32_e32 v25, v25, v6
	v_fma_f32 v5, v24, v5, -v58
	v_fmac_f32_e32 v61, v24, v6
	v_sub_f32_e32 v4, v36, v57
	v_fma_f32 v7, v24, v7, -v25
	v_sub_f32_e32 v5, v37, v5
	v_sub_f32_e32 v6, v0, v61
	v_fma_f32 v24, v36, 2.0, -v4
	v_fma_f32 v25, v37, 2.0, -v5
	v_sub_f32_e32 v7, v1, v7
	v_fma_f32 v0, v0, 2.0, -v6
	v_fma_f32 v1, v1, 2.0, -v7
	ds_write2_b64 v45, v[24:25], v[4:5] offset1:68
	ds_write2_b64 v45, v[0:1], v[6:7] offset0:136 offset1:204
	v_mul_f32_e32 v36, v27, v9
	v_mul_f32_e32 v27, v27, v8
	v_fmac_f32_e32 v36, v26, v8
	v_fma_f32 v9, v26, v9, -v27
	v_mul_f32_e32 v37, v29, v11
	v_mul_f32_e32 v29, v29, v10
	v_sub_f32_e32 v8, v2, v36
	v_sub_f32_e32 v9, v3, v9
	v_add3_u32 v0, 0, v46, v55
	v_fmac_f32_e32 v37, v28, v10
	v_fma_f32 v11, v28, v11, -v29
	v_fma_f32 v2, v2, 2.0, -v8
	v_fma_f32 v3, v3, 2.0, -v9
	v_add_u32_e32 v0, 0x800, v0
	v_mul_f32_e32 v57, v17, v31
	v_mul_f32_e32 v31, v16, v31
	v_sub_f32_e32 v10, v12, v37
	v_sub_f32_e32 v11, v13, v11
	ds_write2_b64 v0, v[2:3], v[8:9] offset0:16 offset1:84
	v_add3_u32 v0, 0, v47, v55
	v_fmac_f32_e32 v57, v16, v30
	v_fma_f32 v17, v17, v30, -v31
	v_fma_f32 v12, v12, 2.0, -v10
	v_fma_f32 v13, v13, 2.0, -v11
	v_add_u32_e32 v0, 0x800, v0
	v_mul_f32_e32 v58, v19, v33
	v_mul_f32_e32 v33, v18, v33
	v_sub_f32_e32 v16, v14, v57
	v_sub_f32_e32 v17, v15, v17
	ds_write2_b64 v0, v[12:13], v[10:11] offset0:152 offset1:220
	;; [unrolled: 11-line block ×3, first 2 shown]
	v_add3_u32 v0, 0, v50, v55
	v_fmac_f32_e32 v61, v38, v34
	v_fma_f32 v27, v39, v34, -v35
	v_fma_f32 v20, v20, 2.0, -v18
	v_fma_f32 v21, v21, 2.0, -v19
	v_add_u32_e32 v0, 0x1000, v0
	v_sub_f32_e32 v26, v22, v61
	v_sub_f32_e32 v27, v23, v27
	ds_write2_b64 v0, v[20:21], v[18:19] offset0:168 offset1:236
	v_add3_u32 v0, 0, v51, v55
	v_fma_f32 v22, v22, 2.0, -v26
	v_fma_f32 v23, v23, 2.0, -v27
	v_add_u32_e32 v0, 0x1800, v0
	ds_write2_b64 v0, v[22:23], v[26:27] offset0:48 offset1:116
	v_mul_u32_u24_e32 v0, 6, v44
	v_lshlrev_b32_e32 v12, 3, v0
	s_waitcnt lgkmcnt(0)
	s_barrier
	global_load_dwordx4 v[0:3], v12, s[12:13] offset:952
	global_load_dwordx4 v[4:7], v12, s[12:13] offset:968
	v_add_co_u32_e32 v16, vcc, s12, v12
	v_addc_co_u32_e32 v17, vcc, 0, v48, vcc
	global_load_dwordx4 v[8:11], v12, s[12:13] offset:984
	v_add_co_u32_e32 v12, vcc, s4, v16
	v_addc_co_u32_e32 v13, vcc, 0, v17, vcc
	global_load_dwordx4 v[12:15], v[12:13], off offset:120
	s_movk_i32 s4, 0x1078
	v_add_co_u32_e32 v24, vcc, s4, v16
	v_addc_co_u32_e32 v25, vcc, 0, v17, vcc
	global_load_dwordx4 v[16:19], v[24:25], off offset:16
	global_load_dwordx4 v[20:23], v[24:25], off offset:32
	v_add_u32_e32 v61, v165, v55
	ds_read2_b64 v[24:27], v45 offset0:68 offset1:136
	ds_read2_b64 v[28:31], v59 offset0:76 offset1:144
	;; [unrolled: 1-line block ×6, first 2 shown]
	ds_read_b64 v[55:56], v56
	ds_read_b64 v[57:58], v45 offset:7072
	s_mov_b32 s4, 0xbf5ff5aa
	s_waitcnt vmcnt(0) lgkmcnt(0)
	s_barrier
	v_mul_f32_e32 v62, v1, v27
	v_mul_f32_e32 v1, v1, v26
	;; [unrolled: 1-line block ×4, first 2 shown]
	v_fmac_f32_e32 v62, v0, v26
	v_fma_f32 v0, v0, v27, -v1
	v_fmac_f32_e32 v63, v2, v30
	v_fma_f32 v1, v2, v31, -v3
	v_mul_f32_e32 v2, v5, v35
	v_mul_f32_e32 v3, v5, v34
	v_fmac_f32_e32 v2, v4, v34
	v_fma_f32 v3, v4, v35, -v3
	v_mul_f32_e32 v4, v7, v39
	v_mul_f32_e32 v5, v7, v38
	;; [unrolled: 4-line block ×10, first 2 shown]
	v_fmac_f32_e32 v21, v57, v22
	v_fma_f32 v22, v58, v22, -v10
	v_add_f32_e32 v10, v62, v8
	v_add_f32_e32 v11, v0, v9
	v_sub_f32_e32 v0, v0, v9
	v_add_f32_e32 v9, v63, v6
	v_add_f32_e32 v12, v1, v7
	v_sub_f32_e32 v6, v63, v6
	v_sub_f32_e32 v1, v1, v7
	v_add_f32_e32 v7, v2, v4
	v_add_f32_e32 v13, v3, v5
	v_sub_f32_e32 v2, v4, v2
	v_sub_f32_e32 v3, v5, v3
	v_add_f32_e32 v4, v9, v10
	v_sub_f32_e32 v8, v62, v8
	v_add_f32_e32 v5, v12, v11
	v_add_f32_e32 v30, v2, v6
	;; [unrolled: 1-line block ×4, first 2 shown]
	v_sub_f32_e32 v23, v9, v10
	v_sub_f32_e32 v10, v10, v7
	;; [unrolled: 1-line block ×9, first 2 shown]
	v_add_f32_e32 v5, v13, v5
	v_add_f32_e32 v7, v30, v8
	;; [unrolled: 1-line block ×4, first 2 shown]
	v_sub_f32_e32 v29, v12, v11
	v_sub_f32_e32 v11, v11, v13
	;; [unrolled: 1-line block ×3, first 2 shown]
	v_add_f32_e32 v1, v5, v56
	v_mov_b32_e32 v36, v0
	v_mul_f32_e32 v10, 0x3f4a47b2, v10
	v_mul_f32_e32 v11, 0x3f4a47b2, v11
	v_mul_f32_e32 v13, 0x3d64c772, v9
	v_mul_f32_e32 v30, 0x3d64c772, v12
	v_mul_f32_e32 v31, 0x3f08b237, v32
	v_mul_f32_e32 v32, 0x3f08b237, v33
	v_mul_f32_e32 v33, 0xbf5ff5aa, v6
	v_fmac_f32_e32 v36, 0xbf955555, v4
	v_mov_b32_e32 v4, v1
	v_mul_f32_e32 v35, 0xbf5ff5aa, v34
	v_fmac_f32_e32 v4, 0xbf955555, v5
	v_fma_f32 v5, v23, s5, -v13
	v_fma_f32 v13, v29, s5, -v30
	;; [unrolled: 1-line block ×3, first 2 shown]
	v_fmac_f32_e32 v10, 0x3d64c772, v9
	v_fma_f32 v9, v29, s6, -v11
	v_fmac_f32_e32 v11, 0x3d64c772, v12
	v_fma_f32 v12, v6, s4, -v31
	v_fma_f32 v30, v2, s7, -v33
	v_fmac_f32_e32 v31, 0xbeae86e6, v2
	v_fma_f32 v29, v34, s4, -v32
	v_fma_f32 v33, v3, s7, -v35
	v_add_f32_e32 v35, v11, v4
	v_add_f32_e32 v11, v13, v4
	;; [unrolled: 1-line block ×4, first 2 shown]
	v_fmac_f32_e32 v12, 0xbee1c552, v7
	v_fmac_f32_e32 v30, 0xbee1c552, v7
	;; [unrolled: 1-line block ×3, first 2 shown]
	v_add_f32_e32 v34, v10, v36
	v_add_f32_e32 v10, v5, v36
	v_fmac_f32_e32 v31, 0xbee1c552, v7
	v_fmac_f32_e32 v29, 0xbee1c552, v8
	v_sub_f32_e32 v5, v23, v30
	v_add_f32_e32 v7, v12, v11
	v_sub_f32_e32 v9, v11, v12
	v_add_f32_e32 v11, v30, v23
	v_add_f32_e32 v23, v26, v21
	v_sub_f32_e32 v21, v26, v21
	v_add_f32_e32 v26, v28, v19
	v_fmac_f32_e32 v32, 0xbee1c552, v8
	v_fmac_f32_e32 v33, 0xbee1c552, v8
	v_sub_f32_e32 v6, v10, v29
	v_add_f32_e32 v8, v29, v10
	v_add_f32_e32 v29, v27, v22
	v_sub_f32_e32 v22, v27, v22
	v_add_f32_e32 v27, v14, v20
	v_sub_f32_e32 v14, v14, v20
	;; [unrolled: 2-line block ×5, first 2 shown]
	v_add_f32_e32 v18, v27, v29
	v_add_f32_e32 v17, v20, v17
	;; [unrolled: 1-line block ×3, first 2 shown]
	v_sub_f32_e32 v3, v35, v31
	v_add_f32_e32 v4, v33, v13
	v_sub_f32_e32 v10, v13, v33
	v_sub_f32_e32 v12, v34, v32
	v_add_f32_e32 v13, v31, v35
	v_add_f32_e32 v33, v16, v14
	v_sub_f32_e32 v34, v15, v19
	v_sub_f32_e32 v35, v16, v14
	;; [unrolled: 1-line block ×3, first 2 shown]
	v_add_f32_e32 v18, v28, v18
	v_add_f32_e32 v14, v17, v24
	v_sub_f32_e32 v30, v26, v23
	v_sub_f32_e32 v31, v27, v29
	;; [unrolled: 1-line block ×6, first 2 shown]
	v_add_f32_e32 v32, v15, v19
	v_sub_f32_e32 v36, v21, v15
	v_sub_f32_e32 v19, v19, v21
	v_add_f32_e32 v15, v18, v25
	v_mul_f32_e32 v28, 0x3f08b237, v34
	v_mov_b32_e32 v34, v14
	v_sub_f32_e32 v16, v22, v16
	v_add_f32_e32 v20, v32, v21
	v_add_f32_e32 v21, v33, v22
	v_mul_f32_e32 v22, 0x3f4a47b2, v23
	v_mul_f32_e32 v23, 0x3f4a47b2, v29
	;; [unrolled: 1-line block ×7, first 2 shown]
	v_fmac_f32_e32 v34, 0xbf955555, v17
	v_mov_b32_e32 v17, v15
	v_fmac_f32_e32 v17, 0xbf955555, v18
	v_fma_f32 v18, v30, s5, -v24
	v_fma_f32 v24, v31, s5, -v25
	;; [unrolled: 1-line block ×3, first 2 shown]
	v_fmac_f32_e32 v22, 0x3d64c772, v26
	v_fma_f32 v26, v31, s6, -v23
	v_fmac_f32_e32 v23, 0x3d64c772, v27
	v_fma_f32 v27, v19, s4, -v28
	;; [unrolled: 2-line block ×4, first 2 shown]
	v_fma_f32 v32, v16, s7, -v33
	v_add_f32_e32 v33, v22, v34
	v_add_f32_e32 v35, v23, v17
	;; [unrolled: 1-line block ×5, first 2 shown]
	v_fmac_f32_e32 v28, 0xbee1c552, v20
	v_fmac_f32_e32 v29, 0xbee1c552, v21
	v_fmac_f32_e32 v31, 0xbee1c552, v20
	v_fmac_f32_e32 v32, 0xbee1c552, v21
	v_add_f32_e32 v22, v18, v34
	v_fmac_f32_e32 v27, 0xbee1c552, v20
	v_fmac_f32_e32 v30, 0xbee1c552, v21
	v_add_f32_e32 v16, v29, v33
	v_sub_f32_e32 v17, v35, v28
	v_add_f32_e32 v18, v32, v24
	v_sub_f32_e32 v19, v25, v31
	ds_write2_b64 v59, v[2:3], v[4:5] offset0:8 offset1:144
	ds_write2_b64 v54, v[6:7], v[8:9] offset0:24 offset1:160
	;; [unrolled: 1-line block ×3, first 2 shown]
	ds_write2_b64 v45, v[0:1], v[14:15] offset1:68
	v_add_u32_e32 v0, 0x400, v61
	v_sub_f32_e32 v20, v22, v30
	v_add_f32_e32 v21, v27, v23
	v_add_f32_e32 v22, v30, v22
	v_sub_f32_e32 v23, v23, v27
	ds_write2_b64 v0, v[16:17], v[18:19] offset0:76 offset1:212
	v_add_u32_e32 v0, 0xc00, v61
	v_sub_f32_e32 v24, v24, v32
	v_add_f32_e32 v25, v31, v25
	v_sub_f32_e32 v26, v33, v29
	v_add_f32_e32 v27, v28, v35
	ds_write2_b64 v0, v[20:21], v[22:23] offset0:92 offset1:228
	v_add_u32_e32 v0, 0x1400, v61
	ds_write2_b64 v0, v[24:25], v[26:27] offset0:108 offset1:244
	s_waitcnt lgkmcnt(0)
	s_barrier
	s_and_saveexec_b64 s[4:5], s[0:1]
	s_cbranch_execz .LBB0_26
; %bb.25:
	v_mul_lo_u32 v0, s3, v42
	v_mul_lo_u32 v1, s2, v43
	v_mad_u64_u32 v[4:5], s[0:1], s2, v42, 0
	v_mov_b32_e32 v7, s11
	v_lshl_add_u32 v6, v44, 3, v157
	v_add3_u32 v5, v5, v1, v0
	v_lshlrev_b64 v[4:5], 3, v[4:5]
	v_mov_b32_e32 v45, 0
	v_add_co_u32_e32 v8, vcc, s10, v4
	v_addc_co_u32_e32 v7, vcc, v7, v5, vcc
	v_lshlrev_b64 v[4:5], 3, v[40:41]
	ds_read2_b64 v[0:3], v6 offset1:68
	v_add_co_u32_e32 v8, vcc, v8, v4
	v_addc_co_u32_e32 v7, vcc, v7, v5, vcc
	v_lshlrev_b64 v[4:5], 3, v[44:45]
	v_add_u32_e32 v9, 0x800, v6
	v_add_co_u32_e32 v4, vcc, v8, v4
	v_addc_co_u32_e32 v5, vcc, v7, v5, vcc
	s_waitcnt lgkmcnt(0)
	global_store_dwordx2 v[4:5], v[0:1], off
	v_add_u32_e32 v0, 0x44, v44
	v_mov_b32_e32 v1, v45
	v_lshlrev_b64 v[0:1], 3, v[0:1]
	v_add_u32_e32 v4, 0x88, v44
	v_add_co_u32_e32 v0, vcc, v8, v0
	v_addc_co_u32_e32 v1, vcc, v7, v1, vcc
	global_store_dwordx2 v[0:1], v[2:3], off
	v_mov_b32_e32 v5, v45
	ds_read2_b64 v[0:3], v6 offset0:136 offset1:204
	v_lshlrev_b64 v[4:5], 3, v[4:5]
	v_add_co_u32_e32 v4, vcc, v8, v4
	v_addc_co_u32_e32 v5, vcc, v7, v5, vcc
	s_waitcnt lgkmcnt(0)
	global_store_dwordx2 v[4:5], v[0:1], off
	v_add_u32_e32 v0, 0xcc, v44
	v_mov_b32_e32 v1, v45
	v_lshlrev_b64 v[0:1], 3, v[0:1]
	v_add_u32_e32 v4, 0x110, v44
	v_add_co_u32_e32 v0, vcc, v8, v0
	v_addc_co_u32_e32 v1, vcc, v7, v1, vcc
	global_store_dwordx2 v[0:1], v[2:3], off
	v_mov_b32_e32 v5, v45
	ds_read2_b64 v[0:3], v9 offset0:16 offset1:84
	v_lshlrev_b64 v[4:5], 3, v[4:5]
	;; [unrolled: 14-line block ×3, first 2 shown]
	v_add_u32_e32 v9, 0x1000, v6
	v_add_co_u32_e32 v4, vcc, v8, v4
	v_addc_co_u32_e32 v5, vcc, v7, v5, vcc
	s_waitcnt lgkmcnt(0)
	global_store_dwordx2 v[4:5], v[0:1], off
	v_add_u32_e32 v0, 0x1dc, v44
	v_mov_b32_e32 v1, v45
	v_lshlrev_b64 v[0:1], 3, v[0:1]
	v_add_u32_e32 v4, 0x220, v44
	v_add_co_u32_e32 v0, vcc, v8, v0
	v_addc_co_u32_e32 v1, vcc, v7, v1, vcc
	global_store_dwordx2 v[0:1], v[2:3], off
	v_mov_b32_e32 v5, v45
	ds_read2_b64 v[0:3], v9 offset0:32 offset1:100
	v_lshlrev_b64 v[4:5], 3, v[4:5]
	v_add_co_u32_e32 v4, vcc, v8, v4
	v_addc_co_u32_e32 v5, vcc, v7, v5, vcc
	s_waitcnt lgkmcnt(0)
	global_store_dwordx2 v[4:5], v[0:1], off
	v_add_u32_e32 v0, 0x264, v44
	v_mov_b32_e32 v1, v45
	v_lshlrev_b64 v[0:1], 3, v[0:1]
	v_add_u32_e32 v4, 0x2a8, v44
	v_add_co_u32_e32 v0, vcc, v8, v0
	v_addc_co_u32_e32 v1, vcc, v7, v1, vcc
	global_store_dwordx2 v[0:1], v[2:3], off
	v_mov_b32_e32 v5, v45
	ds_read2_b64 v[0:3], v9 offset0:168 offset1:236
	v_lshlrev_b64 v[4:5], 3, v[4:5]
	v_add_co_u32_e32 v4, vcc, v8, v4
	v_addc_co_u32_e32 v5, vcc, v7, v5, vcc
	s_waitcnt lgkmcnt(0)
	global_store_dwordx2 v[4:5], v[0:1], off
	v_add_u32_e32 v0, 0x2ec, v44
	v_mov_b32_e32 v1, v45
	v_lshlrev_b64 v[0:1], 3, v[0:1]
	v_add_u32_e32 v4, 0x330, v44
	v_add_co_u32_e32 v0, vcc, v8, v0
	v_addc_co_u32_e32 v1, vcc, v7, v1, vcc
	global_store_dwordx2 v[0:1], v[2:3], off
	v_add_u32_e32 v0, 0x1800, v6
	v_mov_b32_e32 v5, v45
	ds_read2_b64 v[0:3], v0 offset0:48 offset1:116
	v_lshlrev_b64 v[4:5], 3, v[4:5]
	v_add_u32_e32 v44, 0x374, v44
	v_add_co_u32_e32 v4, vcc, v8, v4
	v_addc_co_u32_e32 v5, vcc, v7, v5, vcc
	s_waitcnt lgkmcnt(0)
	global_store_dwordx2 v[4:5], v[0:1], off
	v_lshlrev_b64 v[0:1], 3, v[44:45]
	v_add_co_u32_e32 v0, vcc, v8, v0
	v_addc_co_u32_e32 v1, vcc, v7, v1, vcc
	global_store_dwordx2 v[0:1], v[2:3], off
.LBB0_26:
	s_endpgm
	.section	.rodata,"a",@progbits
	.p2align	6, 0x0
	.amdhsa_kernel fft_rtc_back_len952_factors_17_4_2_7_wgs_204_tpt_68_halfLds_sp_op_CI_CI_unitstride_sbrr_C2R_dirReg
		.amdhsa_group_segment_fixed_size 0
		.amdhsa_private_segment_fixed_size 8
		.amdhsa_kernarg_size 104
		.amdhsa_user_sgpr_count 6
		.amdhsa_user_sgpr_private_segment_buffer 1
		.amdhsa_user_sgpr_dispatch_ptr 0
		.amdhsa_user_sgpr_queue_ptr 0
		.amdhsa_user_sgpr_kernarg_segment_ptr 1
		.amdhsa_user_sgpr_dispatch_id 0
		.amdhsa_user_sgpr_flat_scratch_init 0
		.amdhsa_user_sgpr_private_segment_size 0
		.amdhsa_uses_dynamic_stack 0
		.amdhsa_system_sgpr_private_segment_wavefront_offset 1
		.amdhsa_system_sgpr_workgroup_id_x 1
		.amdhsa_system_sgpr_workgroup_id_y 0
		.amdhsa_system_sgpr_workgroup_id_z 0
		.amdhsa_system_sgpr_workgroup_info 0
		.amdhsa_system_vgpr_workitem_id 0
		.amdhsa_next_free_vgpr 256
		.amdhsa_next_free_sgpr 32
		.amdhsa_reserve_vcc 1
		.amdhsa_reserve_flat_scratch 0
		.amdhsa_float_round_mode_32 0
		.amdhsa_float_round_mode_16_64 0
		.amdhsa_float_denorm_mode_32 3
		.amdhsa_float_denorm_mode_16_64 3
		.amdhsa_dx10_clamp 1
		.amdhsa_ieee_mode 1
		.amdhsa_fp16_overflow 0
		.amdhsa_exception_fp_ieee_invalid_op 0
		.amdhsa_exception_fp_denorm_src 0
		.amdhsa_exception_fp_ieee_div_zero 0
		.amdhsa_exception_fp_ieee_overflow 0
		.amdhsa_exception_fp_ieee_underflow 0
		.amdhsa_exception_fp_ieee_inexact 0
		.amdhsa_exception_int_div_zero 0
	.end_amdhsa_kernel
	.text
.Lfunc_end0:
	.size	fft_rtc_back_len952_factors_17_4_2_7_wgs_204_tpt_68_halfLds_sp_op_CI_CI_unitstride_sbrr_C2R_dirReg, .Lfunc_end0-fft_rtc_back_len952_factors_17_4_2_7_wgs_204_tpt_68_halfLds_sp_op_CI_CI_unitstride_sbrr_C2R_dirReg
                                        ; -- End function
	.section	.AMDGPU.csdata,"",@progbits
; Kernel info:
; codeLenInByte = 12000
; NumSgprs: 36
; NumVgprs: 256
; ScratchSize: 8
; MemoryBound: 0
; FloatMode: 240
; IeeeMode: 1
; LDSByteSize: 0 bytes/workgroup (compile time only)
; SGPRBlocks: 4
; VGPRBlocks: 63
; NumSGPRsForWavesPerEU: 36
; NumVGPRsForWavesPerEU: 256
; Occupancy: 1
; WaveLimiterHint : 1
; COMPUTE_PGM_RSRC2:SCRATCH_EN: 1
; COMPUTE_PGM_RSRC2:USER_SGPR: 6
; COMPUTE_PGM_RSRC2:TRAP_HANDLER: 0
; COMPUTE_PGM_RSRC2:TGID_X_EN: 1
; COMPUTE_PGM_RSRC2:TGID_Y_EN: 0
; COMPUTE_PGM_RSRC2:TGID_Z_EN: 0
; COMPUTE_PGM_RSRC2:TIDIG_COMP_CNT: 0
	.type	__hip_cuid_c9643e83ff4061e,@object ; @__hip_cuid_c9643e83ff4061e
	.section	.bss,"aw",@nobits
	.globl	__hip_cuid_c9643e83ff4061e
__hip_cuid_c9643e83ff4061e:
	.byte	0                               ; 0x0
	.size	__hip_cuid_c9643e83ff4061e, 1

	.ident	"AMD clang version 19.0.0git (https://github.com/RadeonOpenCompute/llvm-project roc-6.4.0 25133 c7fe45cf4b819c5991fe208aaa96edf142730f1d)"
	.section	".note.GNU-stack","",@progbits
	.addrsig
	.addrsig_sym __hip_cuid_c9643e83ff4061e
	.amdgpu_metadata
---
amdhsa.kernels:
  - .args:
      - .actual_access:  read_only
        .address_space:  global
        .offset:         0
        .size:           8
        .value_kind:     global_buffer
      - .offset:         8
        .size:           8
        .value_kind:     by_value
      - .actual_access:  read_only
        .address_space:  global
        .offset:         16
        .size:           8
        .value_kind:     global_buffer
      - .actual_access:  read_only
        .address_space:  global
        .offset:         24
        .size:           8
        .value_kind:     global_buffer
      - .actual_access:  read_only
        .address_space:  global
        .offset:         32
        .size:           8
        .value_kind:     global_buffer
      - .offset:         40
        .size:           8
        .value_kind:     by_value
      - .actual_access:  read_only
        .address_space:  global
        .offset:         48
        .size:           8
        .value_kind:     global_buffer
      - .actual_access:  read_only
        .address_space:  global
        .offset:         56
        .size:           8
        .value_kind:     global_buffer
      - .offset:         64
        .size:           4
        .value_kind:     by_value
      - .actual_access:  read_only
        .address_space:  global
        .offset:         72
        .size:           8
        .value_kind:     global_buffer
      - .actual_access:  read_only
        .address_space:  global
        .offset:         80
        .size:           8
        .value_kind:     global_buffer
      - .actual_access:  read_only
        .address_space:  global
        .offset:         88
        .size:           8
        .value_kind:     global_buffer
      - .actual_access:  write_only
        .address_space:  global
        .offset:         96
        .size:           8
        .value_kind:     global_buffer
    .group_segment_fixed_size: 0
    .kernarg_segment_align: 8
    .kernarg_segment_size: 104
    .language:       OpenCL C
    .language_version:
      - 2
      - 0
    .max_flat_workgroup_size: 204
    .name:           fft_rtc_back_len952_factors_17_4_2_7_wgs_204_tpt_68_halfLds_sp_op_CI_CI_unitstride_sbrr_C2R_dirReg
    .private_segment_fixed_size: 8
    .sgpr_count:     36
    .sgpr_spill_count: 0
    .symbol:         fft_rtc_back_len952_factors_17_4_2_7_wgs_204_tpt_68_halfLds_sp_op_CI_CI_unitstride_sbrr_C2R_dirReg.kd
    .uniform_work_group_size: 1
    .uses_dynamic_stack: false
    .vgpr_count:     256
    .vgpr_spill_count: 1
    .wavefront_size: 64
amdhsa.target:   amdgcn-amd-amdhsa--gfx906
amdhsa.version:
  - 1
  - 2
...

	.end_amdgpu_metadata
